;; amdgpu-corpus repo=ROCm/rocFFT kind=compiled arch=gfx1100 opt=O3
	.text
	.amdgcn_target "amdgcn-amd-amdhsa--gfx1100"
	.amdhsa_code_object_version 6
	.protected	fft_rtc_fwd_len2430_factors_10_3_3_3_3_3_wgs_81_tpt_81_halfLds_dp_op_CI_CI_unitstride_sbrr_dirReg ; -- Begin function fft_rtc_fwd_len2430_factors_10_3_3_3_3_3_wgs_81_tpt_81_halfLds_dp_op_CI_CI_unitstride_sbrr_dirReg
	.globl	fft_rtc_fwd_len2430_factors_10_3_3_3_3_3_wgs_81_tpt_81_halfLds_dp_op_CI_CI_unitstride_sbrr_dirReg
	.p2align	8
	.type	fft_rtc_fwd_len2430_factors_10_3_3_3_3_3_wgs_81_tpt_81_halfLds_dp_op_CI_CI_unitstride_sbrr_dirReg,@function
fft_rtc_fwd_len2430_factors_10_3_3_3_3_3_wgs_81_tpt_81_halfLds_dp_op_CI_CI_unitstride_sbrr_dirReg: ; @fft_rtc_fwd_len2430_factors_10_3_3_3_3_3_wgs_81_tpt_81_halfLds_dp_op_CI_CI_unitstride_sbrr_dirReg
; %bb.0:
	s_clause 0x2
	s_load_b128 s[8:11], s[0:1], 0x0
	s_load_b128 s[4:7], s[0:1], 0x58
	;; [unrolled: 1-line block ×3, first 2 shown]
	v_mul_u32_u24_e32 v1, 0x32a, v0
	v_mov_b32_e32 v4, 0
	v_mov_b32_e32 v5, 0
	s_delay_alu instid0(VALU_DEP_3) | instskip(NEXT) | instid1(VALU_DEP_1)
	v_lshrrev_b32_e32 v2, 16, v1
	v_dual_mov_b32 v1, 0 :: v_dual_add_nc_u32 v6, s15, v2
	s_delay_alu instid0(VALU_DEP_1) | instskip(SKIP_2) | instid1(VALU_DEP_1)
	v_mov_b32_e32 v7, v1
	s_waitcnt lgkmcnt(0)
	v_cmp_lt_u64_e64 s2, s[10:11], 2
	s_and_b32 vcc_lo, exec_lo, s2
	s_cbranch_vccnz .LBB0_8
; %bb.1:
	s_load_b64 s[2:3], s[0:1], 0x10
	v_mov_b32_e32 v4, 0
	v_mov_b32_e32 v5, 0
	s_add_u32 s12, s18, 8
	s_addc_u32 s13, s19, 0
	s_add_u32 s14, s16, 8
	s_addc_u32 s15, s17, 0
	v_dual_mov_b32 v201, v5 :: v_dual_mov_b32 v200, v4
	s_mov_b64 s[22:23], 1
	s_waitcnt lgkmcnt(0)
	s_add_u32 s20, s2, 8
	s_addc_u32 s21, s3, 0
.LBB0_2:                                ; =>This Inner Loop Header: Depth=1
	s_load_b64 s[24:25], s[20:21], 0x0
                                        ; implicit-def: $vgpr166_vgpr167
	s_mov_b32 s2, exec_lo
	s_waitcnt lgkmcnt(0)
	v_or_b32_e32 v2, s25, v7
	s_delay_alu instid0(VALU_DEP_1)
	v_cmpx_ne_u64_e32 0, v[1:2]
	s_xor_b32 s3, exec_lo, s2
	s_cbranch_execz .LBB0_4
; %bb.3:                                ;   in Loop: Header=BB0_2 Depth=1
	v_cvt_f32_u32_e32 v2, s24
	v_cvt_f32_u32_e32 v3, s25
	s_sub_u32 s2, 0, s24
	s_subb_u32 s26, 0, s25
	s_delay_alu instid0(VALU_DEP_1) | instskip(NEXT) | instid1(VALU_DEP_1)
	v_fmac_f32_e32 v2, 0x4f800000, v3
	v_rcp_f32_e32 v2, v2
	s_waitcnt_depctr 0xfff
	v_mul_f32_e32 v2, 0x5f7ffffc, v2
	s_delay_alu instid0(VALU_DEP_1) | instskip(NEXT) | instid1(VALU_DEP_1)
	v_mul_f32_e32 v3, 0x2f800000, v2
	v_trunc_f32_e32 v3, v3
	s_delay_alu instid0(VALU_DEP_1) | instskip(SKIP_1) | instid1(VALU_DEP_2)
	v_fmac_f32_e32 v2, 0xcf800000, v3
	v_cvt_u32_f32_e32 v3, v3
	v_cvt_u32_f32_e32 v2, v2
	s_delay_alu instid0(VALU_DEP_2) | instskip(NEXT) | instid1(VALU_DEP_2)
	v_mul_lo_u32 v8, s2, v3
	v_mul_hi_u32 v9, s2, v2
	v_mul_lo_u32 v10, s26, v2
	s_delay_alu instid0(VALU_DEP_2) | instskip(SKIP_1) | instid1(VALU_DEP_2)
	v_add_nc_u32_e32 v8, v9, v8
	v_mul_lo_u32 v9, s2, v2
	v_add_nc_u32_e32 v8, v8, v10
	s_delay_alu instid0(VALU_DEP_2) | instskip(NEXT) | instid1(VALU_DEP_2)
	v_mul_hi_u32 v10, v2, v9
	v_mul_lo_u32 v11, v2, v8
	v_mul_hi_u32 v12, v2, v8
	v_mul_hi_u32 v13, v3, v9
	v_mul_lo_u32 v9, v3, v9
	v_mul_hi_u32 v14, v3, v8
	v_mul_lo_u32 v8, v3, v8
	v_add_co_u32 v10, vcc_lo, v10, v11
	v_add_co_ci_u32_e32 v11, vcc_lo, 0, v12, vcc_lo
	s_delay_alu instid0(VALU_DEP_2) | instskip(NEXT) | instid1(VALU_DEP_2)
	v_add_co_u32 v9, vcc_lo, v10, v9
	v_add_co_ci_u32_e32 v9, vcc_lo, v11, v13, vcc_lo
	v_add_co_ci_u32_e32 v10, vcc_lo, 0, v14, vcc_lo
	s_delay_alu instid0(VALU_DEP_2) | instskip(NEXT) | instid1(VALU_DEP_2)
	v_add_co_u32 v8, vcc_lo, v9, v8
	v_add_co_ci_u32_e32 v9, vcc_lo, 0, v10, vcc_lo
	s_delay_alu instid0(VALU_DEP_2) | instskip(NEXT) | instid1(VALU_DEP_2)
	v_add_co_u32 v2, vcc_lo, v2, v8
	v_add_co_ci_u32_e32 v3, vcc_lo, v3, v9, vcc_lo
	s_delay_alu instid0(VALU_DEP_2) | instskip(SKIP_1) | instid1(VALU_DEP_3)
	v_mul_hi_u32 v8, s2, v2
	v_mul_lo_u32 v10, s26, v2
	v_mul_lo_u32 v9, s2, v3
	s_delay_alu instid0(VALU_DEP_1) | instskip(SKIP_1) | instid1(VALU_DEP_2)
	v_add_nc_u32_e32 v8, v8, v9
	v_mul_lo_u32 v9, s2, v2
	v_add_nc_u32_e32 v8, v8, v10
	s_delay_alu instid0(VALU_DEP_2) | instskip(NEXT) | instid1(VALU_DEP_2)
	v_mul_hi_u32 v10, v2, v9
	v_mul_lo_u32 v11, v2, v8
	v_mul_hi_u32 v12, v2, v8
	v_mul_hi_u32 v13, v3, v9
	v_mul_lo_u32 v9, v3, v9
	v_mul_hi_u32 v14, v3, v8
	v_mul_lo_u32 v8, v3, v8
	v_add_co_u32 v10, vcc_lo, v10, v11
	v_add_co_ci_u32_e32 v11, vcc_lo, 0, v12, vcc_lo
	s_delay_alu instid0(VALU_DEP_2) | instskip(NEXT) | instid1(VALU_DEP_2)
	v_add_co_u32 v9, vcc_lo, v10, v9
	v_add_co_ci_u32_e32 v9, vcc_lo, v11, v13, vcc_lo
	v_add_co_ci_u32_e32 v10, vcc_lo, 0, v14, vcc_lo
	s_delay_alu instid0(VALU_DEP_2) | instskip(NEXT) | instid1(VALU_DEP_2)
	v_add_co_u32 v8, vcc_lo, v9, v8
	v_add_co_ci_u32_e32 v9, vcc_lo, 0, v10, vcc_lo
	s_delay_alu instid0(VALU_DEP_2) | instskip(NEXT) | instid1(VALU_DEP_2)
	v_add_co_u32 v10, vcc_lo, v2, v8
	v_add_co_ci_u32_e32 v12, vcc_lo, v3, v9, vcc_lo
	s_delay_alu instid0(VALU_DEP_2) | instskip(SKIP_1) | instid1(VALU_DEP_3)
	v_mul_hi_u32 v13, v6, v10
	v_mad_u64_u32 v[8:9], null, v7, v10, 0
	v_mad_u64_u32 v[2:3], null, v6, v12, 0
	;; [unrolled: 1-line block ×3, first 2 shown]
	s_delay_alu instid0(VALU_DEP_2) | instskip(NEXT) | instid1(VALU_DEP_3)
	v_add_co_u32 v2, vcc_lo, v13, v2
	v_add_co_ci_u32_e32 v3, vcc_lo, 0, v3, vcc_lo
	s_delay_alu instid0(VALU_DEP_2) | instskip(NEXT) | instid1(VALU_DEP_2)
	v_add_co_u32 v2, vcc_lo, v2, v8
	v_add_co_ci_u32_e32 v2, vcc_lo, v3, v9, vcc_lo
	v_add_co_ci_u32_e32 v3, vcc_lo, 0, v11, vcc_lo
	s_delay_alu instid0(VALU_DEP_2) | instskip(NEXT) | instid1(VALU_DEP_2)
	v_add_co_u32 v8, vcc_lo, v2, v10
	v_add_co_ci_u32_e32 v9, vcc_lo, 0, v3, vcc_lo
	s_delay_alu instid0(VALU_DEP_2) | instskip(SKIP_1) | instid1(VALU_DEP_3)
	v_mul_lo_u32 v10, s25, v8
	v_mad_u64_u32 v[2:3], null, s24, v8, 0
	v_mul_lo_u32 v11, s24, v9
	s_delay_alu instid0(VALU_DEP_2) | instskip(NEXT) | instid1(VALU_DEP_2)
	v_sub_co_u32 v2, vcc_lo, v6, v2
	v_add3_u32 v3, v3, v11, v10
	s_delay_alu instid0(VALU_DEP_1) | instskip(NEXT) | instid1(VALU_DEP_1)
	v_sub_nc_u32_e32 v10, v7, v3
	v_subrev_co_ci_u32_e64 v10, s2, s25, v10, vcc_lo
	v_add_co_u32 v11, s2, v8, 2
	s_delay_alu instid0(VALU_DEP_1) | instskip(SKIP_3) | instid1(VALU_DEP_3)
	v_add_co_ci_u32_e64 v12, s2, 0, v9, s2
	v_sub_co_u32 v13, s2, v2, s24
	v_sub_co_ci_u32_e32 v3, vcc_lo, v7, v3, vcc_lo
	v_subrev_co_ci_u32_e64 v10, s2, 0, v10, s2
	v_cmp_le_u32_e32 vcc_lo, s24, v13
	s_delay_alu instid0(VALU_DEP_3) | instskip(SKIP_1) | instid1(VALU_DEP_4)
	v_cmp_eq_u32_e64 s2, s25, v3
	v_cndmask_b32_e64 v13, 0, -1, vcc_lo
	v_cmp_le_u32_e32 vcc_lo, s25, v10
	v_cndmask_b32_e64 v14, 0, -1, vcc_lo
	v_cmp_le_u32_e32 vcc_lo, s24, v2
	;; [unrolled: 2-line block ×3, first 2 shown]
	v_cndmask_b32_e64 v15, 0, -1, vcc_lo
	v_cmp_eq_u32_e32 vcc_lo, s25, v10
	s_delay_alu instid0(VALU_DEP_2) | instskip(SKIP_3) | instid1(VALU_DEP_3)
	v_cndmask_b32_e64 v2, v15, v2, s2
	v_cndmask_b32_e32 v10, v14, v13, vcc_lo
	v_add_co_u32 v13, vcc_lo, v8, 1
	v_add_co_ci_u32_e32 v14, vcc_lo, 0, v9, vcc_lo
	v_cmp_ne_u32_e32 vcc_lo, 0, v10
	s_delay_alu instid0(VALU_DEP_2) | instskip(SKIP_1) | instid1(VALU_DEP_2)
	v_dual_cndmask_b32 v3, v14, v12 :: v_dual_cndmask_b32 v10, v13, v11
	v_cmp_ne_u32_e32 vcc_lo, 0, v2
	v_dual_cndmask_b32 v167, v9, v3 :: v_dual_cndmask_b32 v166, v8, v10
.LBB0_4:                                ;   in Loop: Header=BB0_2 Depth=1
	s_and_not1_saveexec_b32 s2, s3
	s_cbranch_execz .LBB0_6
; %bb.5:                                ;   in Loop: Header=BB0_2 Depth=1
	v_cvt_f32_u32_e32 v2, s24
	s_sub_i32 s3, 0, s24
	v_mov_b32_e32 v167, v1
	s_delay_alu instid0(VALU_DEP_2) | instskip(SKIP_2) | instid1(VALU_DEP_1)
	v_rcp_iflag_f32_e32 v2, v2
	s_waitcnt_depctr 0xfff
	v_mul_f32_e32 v2, 0x4f7ffffe, v2
	v_cvt_u32_f32_e32 v2, v2
	s_delay_alu instid0(VALU_DEP_1) | instskip(NEXT) | instid1(VALU_DEP_1)
	v_mul_lo_u32 v3, s3, v2
	v_mul_hi_u32 v3, v2, v3
	s_delay_alu instid0(VALU_DEP_1) | instskip(NEXT) | instid1(VALU_DEP_1)
	v_add_nc_u32_e32 v2, v2, v3
	v_mul_hi_u32 v2, v6, v2
	s_delay_alu instid0(VALU_DEP_1) | instskip(SKIP_1) | instid1(VALU_DEP_2)
	v_mul_lo_u32 v3, v2, s24
	v_add_nc_u32_e32 v8, 1, v2
	v_sub_nc_u32_e32 v3, v6, v3
	s_delay_alu instid0(VALU_DEP_1) | instskip(SKIP_1) | instid1(VALU_DEP_2)
	v_subrev_nc_u32_e32 v9, s24, v3
	v_cmp_le_u32_e32 vcc_lo, s24, v3
	v_dual_cndmask_b32 v3, v3, v9 :: v_dual_cndmask_b32 v2, v2, v8
	s_delay_alu instid0(VALU_DEP_1) | instskip(NEXT) | instid1(VALU_DEP_2)
	v_cmp_le_u32_e32 vcc_lo, s24, v3
	v_add_nc_u32_e32 v8, 1, v2
	s_delay_alu instid0(VALU_DEP_1)
	v_cndmask_b32_e32 v166, v2, v8, vcc_lo
.LBB0_6:                                ;   in Loop: Header=BB0_2 Depth=1
	s_or_b32 exec_lo, exec_lo, s2
	s_delay_alu instid0(VALU_DEP_1) | instskip(NEXT) | instid1(VALU_DEP_2)
	v_mul_lo_u32 v8, v167, s24
	v_mul_lo_u32 v9, v166, s25
	s_load_b64 s[2:3], s[14:15], 0x0
	v_mad_u64_u32 v[2:3], null, v166, s24, 0
	s_load_b64 s[24:25], s[12:13], 0x0
	s_add_u32 s22, s22, 1
	s_addc_u32 s23, s23, 0
	s_add_u32 s12, s12, 8
	s_addc_u32 s13, s13, 0
	s_add_u32 s14, s14, 8
	s_delay_alu instid0(VALU_DEP_1) | instskip(SKIP_3) | instid1(VALU_DEP_2)
	v_add3_u32 v3, v3, v9, v8
	v_sub_co_u32 v8, vcc_lo, v6, v2
	s_addc_u32 s15, s15, 0
	s_add_u32 s20, s20, 8
	v_sub_co_ci_u32_e32 v6, vcc_lo, v7, v3, vcc_lo
	s_addc_u32 s21, s21, 0
	s_waitcnt lgkmcnt(0)
	s_delay_alu instid0(VALU_DEP_1)
	v_mul_lo_u32 v9, s2, v6
	v_mul_lo_u32 v10, s3, v8
	v_mad_u64_u32 v[2:3], null, s2, v8, v[4:5]
	v_mul_lo_u32 v11, s24, v6
	v_mul_lo_u32 v12, s25, v8
	v_mad_u64_u32 v[6:7], null, s24, v8, v[200:201]
	v_cmp_ge_u64_e64 s2, s[22:23], s[10:11]
	v_add3_u32 v5, v10, v3, v9
	v_mov_b32_e32 v4, v2
	s_delay_alu instid0(VALU_DEP_4)
	v_add3_u32 v201, v12, v7, v11
	v_mov_b32_e32 v200, v6
	s_and_b32 vcc_lo, exec_lo, s2
	s_cbranch_vccnz .LBB0_9
; %bb.7:                                ;   in Loop: Header=BB0_2 Depth=1
	v_dual_mov_b32 v6, v166 :: v_dual_mov_b32 v7, v167
	s_branch .LBB0_2
.LBB0_8:
	v_dual_mov_b32 v201, v5 :: v_dual_mov_b32 v200, v4
	v_dual_mov_b32 v167, v7 :: v_dual_mov_b32 v166, v6
.LBB0_9:
	s_load_b64 s[0:1], s[0:1], 0x28
	v_mul_hi_u32 v1, 0x3291620, v0
	s_lshl_b64 s[10:11], s[10:11], 3
                                        ; implicit-def: $vgpr204
	s_delay_alu instid0(SALU_CYCLE_1) | instskip(SKIP_4) | instid1(VALU_DEP_1)
	s_add_u32 s2, s18, s10
	s_addc_u32 s3, s19, s11
	s_waitcnt lgkmcnt(0)
	v_cmp_gt_u64_e32 vcc_lo, s[0:1], v[166:167]
	v_cmp_le_u64_e64 s0, s[0:1], v[166:167]
	s_and_saveexec_b32 s1, s0
	s_delay_alu instid0(SALU_CYCLE_1)
	s_xor_b32 s0, exec_lo, s1
; %bb.10:
	v_mul_u32_u24_e32 v1, 0x51, v1
                                        ; implicit-def: $vgpr4_vgpr5
	s_delay_alu instid0(VALU_DEP_1)
	v_sub_nc_u32_e32 v204, v0, v1
                                        ; implicit-def: $vgpr1
                                        ; implicit-def: $vgpr0
; %bb.11:
	s_or_saveexec_b32 s1, s0
                                        ; implicit-def: $vgpr2_vgpr3
                                        ; implicit-def: $vgpr6_vgpr7
                                        ; implicit-def: $vgpr14_vgpr15
                                        ; implicit-def: $vgpr22_vgpr23
                                        ; implicit-def: $vgpr42_vgpr43
                                        ; implicit-def: $vgpr30_vgpr31
                                        ; implicit-def: $vgpr38_vgpr39
                                        ; implicit-def: $vgpr18_vgpr19
                                        ; implicit-def: $vgpr34_vgpr35
                                        ; implicit-def: $vgpr26_vgpr27
                                        ; implicit-def: $vgpr10_vgpr11
                                        ; implicit-def: $vgpr62_vgpr63
                                        ; implicit-def: $vgpr74_vgpr75
                                        ; implicit-def: $vgpr46_vgpr47
                                        ; implicit-def: $vgpr82_vgpr83
                                        ; implicit-def: $vgpr90_vgpr91
                                        ; implicit-def: $vgpr102_vgpr103
                                        ; implicit-def: $vgpr110_vgpr111
                                        ; implicit-def: $vgpr58_vgpr59
                                        ; implicit-def: $vgpr54_vgpr55
                                        ; implicit-def: $vgpr70_vgpr71
                                        ; implicit-def: $vgpr66_vgpr67
                                        ; implicit-def: $vgpr78_vgpr79
                                        ; implicit-def: $vgpr50_vgpr51
                                        ; implicit-def: $vgpr106_vgpr107
                                        ; implicit-def: $vgpr94_vgpr95
                                        ; implicit-def: $vgpr118_vgpr119
                                        ; implicit-def: $vgpr114_vgpr115
                                        ; implicit-def: $vgpr98_vgpr99
                                        ; implicit-def: $vgpr86_vgpr87
	s_delay_alu instid0(SALU_CYCLE_1)
	s_xor_b32 exec_lo, exec_lo, s1
	s_cbranch_execz .LBB0_13
; %bb.12:
	s_add_u32 s10, s16, s10
	s_addc_u32 s11, s17, s11
	s_load_b64 s[10:11], s[10:11], 0x0
	s_waitcnt lgkmcnt(0)
	v_mul_lo_u32 v6, s11, v166
	v_mul_lo_u32 v7, s10, v167
	v_mad_u64_u32 v[2:3], null, s10, v166, 0
	s_delay_alu instid0(VALU_DEP_1) | instskip(SKIP_1) | instid1(VALU_DEP_2)
	v_add3_u32 v3, v3, v7, v6
	v_mul_u32_u24_e32 v6, 0x51, v1
	v_lshlrev_b64 v[1:2], 4, v[2:3]
	v_lshlrev_b64 v[3:4], 4, v[4:5]
	s_delay_alu instid0(VALU_DEP_3) | instskip(NEXT) | instid1(VALU_DEP_3)
	v_sub_nc_u32_e32 v204, v0, v6
	v_add_co_u32 v0, s0, s4, v1
	s_delay_alu instid0(VALU_DEP_1) | instskip(NEXT) | instid1(VALU_DEP_3)
	v_add_co_ci_u32_e64 v1, s0, s5, v2, s0
	v_lshlrev_b32_e32 v2, 4, v204
	s_delay_alu instid0(VALU_DEP_3) | instskip(NEXT) | instid1(VALU_DEP_1)
	v_add_co_u32 v0, s0, v0, v3
	v_add_co_ci_u32_e64 v1, s0, v1, v4, s0
	s_delay_alu instid0(VALU_DEP_2) | instskip(NEXT) | instid1(VALU_DEP_1)
	v_add_co_u32 v0, s0, v0, v2
	v_add_co_ci_u32_e64 v1, s0, 0, v1, s0
	s_delay_alu instid0(VALU_DEP_2) | instskip(NEXT) | instid1(VALU_DEP_1)
	v_add_co_u32 v2, s0, 0x1000, v0
	v_add_co_ci_u32_e64 v3, s0, 0, v1, s0
	v_add_co_u32 v4, s0, 0x2000, v0
	s_delay_alu instid0(VALU_DEP_1) | instskip(SKIP_1) | instid1(VALU_DEP_1)
	v_add_co_ci_u32_e64 v5, s0, 0, v1, s0
	v_add_co_u32 v6, s0, 0x3000, v0
	v_add_co_ci_u32_e64 v7, s0, 0, v1, s0
	v_add_co_u32 v8, s0, 0x4000, v0
	s_delay_alu instid0(VALU_DEP_1) | instskip(SKIP_1) | instid1(VALU_DEP_1)
	v_add_co_ci_u32_e64 v9, s0, 0, v1, s0
	;; [unrolled: 5-line block ×3, first 2 shown]
	v_add_co_u32 v14, s0, 0x7000, v0
	v_add_co_ci_u32_e64 v15, s0, 0, v1, s0
	v_add_co_u32 v120, s0, 0x8000, v0
	s_clause 0x11
	global_load_b128 v[84:87], v[0:1], off
	global_load_b128 v[52:55], v[0:1], off offset:1296
	global_load_b128 v[112:115], v[2:3], off offset:3680
	;; [unrolled: 1-line block ×17, first 2 shown]
	v_add_co_ci_u32_e64 v121, s0, 0, v1, s0
	v_add_co_u32 v0, s0, 0x9000, v0
	s_delay_alu instid0(VALU_DEP_1)
	v_add_co_ci_u32_e64 v1, s0, 0, v1, s0
	s_clause 0xb
	global_load_b128 v[80:83], v[10:11], off offset:256
	global_load_b128 v[40:43], v[10:11], off offset:1552
	;; [unrolled: 1-line block ×12, first 2 shown]
.LBB0_13:
	s_or_b32 exec_lo, exec_lo, s1
	s_waitcnt vmcnt(9)
	v_add_f64 v[138:139], v[76:77], v[104:105]
	s_waitcnt vmcnt(3)
	v_add_f64 v[140:141], v[68:69], v[116:117]
	v_add_f64 v[209:210], v[78:79], v[106:107]
	;; [unrolled: 1-line block ×3, first 2 shown]
	v_add_f64 v[178:179], v[118:119], -v[70:71]
	v_add_f64 v[221:222], v[106:107], -v[78:79]
	s_mov_b32 s10, 0x134454ff
	s_mov_b32 s11, 0x3fee6f0e
	;; [unrolled: 1-line block ×4, first 2 shown]
	v_add_f64 v[186:187], v[112:113], v[84:85]
	v_add_f64 v[188:189], v[114:115], v[86:87]
	;; [unrolled: 1-line block ×10, first 2 shown]
	v_add_f64 v[213:214], v[116:117], -v[104:105]
	v_add_f64 v[182:183], v[104:105], -v[116:117]
	v_add_f64 v[217:218], v[68:69], -v[76:77]
	v_add_f64 v[219:220], v[76:77], -v[68:69]
	v_add_f64 v[144:145], v[118:119], -v[106:107]
	v_add_f64 v[142:143], v[106:107], -v[118:119]
	v_add_f64 v[118:119], v[104:105], -v[76:77]
	v_add_f64 v[130:131], v[92:93], -v[112:113]
	v_add_f64 v[168:169], v[44:45], v[88:89]
	v_add_f64 v[170:171], v[60:61], v[108:109]
	v_add_f64 v[136:137], v[48:49], -v[64:65]
	v_add_f64 v[176:177], v[72:73], v[80:81]
	s_waitcnt vmcnt(1)
	v_add_f64 v[180:181], v[8:9], v[100:101]
	v_add_f64 v[227:228], v[100:101], v[56:57]
	;; [unrolled: 1-line block ×4, first 2 shown]
	s_mov_b32 s12, 0x4755a5e
	s_mov_b32 s13, 0x3fe2cf23
	v_fma_f64 v[215:216], v[138:139], -0.5, v[96:97]
	v_fma_f64 v[223:224], v[140:141], -0.5, v[96:97]
	v_add_f64 v[138:139], v[116:117], -v[68:69]
	v_fma_f64 v[209:210], v[209:210], -0.5, v[98:99]
	v_fma_f64 v[211:212], v[211:212], -0.5, v[98:99]
	s_mov_b32 s5, 0xbfe2cf23
	s_mov_b32 s4, s12
	v_add_f64 v[120:121], v[114:115], -v[66:67]
	v_add_f64 v[124:125], v[112:113], -v[92:93]
	v_add_f64 v[174:175], v[62:63], v[110:111]
	v_add_f64 v[126:127], v[114:115], -v[94:95]
	v_add_f64 v[128:129], v[94:95], -v[114:115]
	;; [unrolled: 1-line block ×20, first 2 shown]
	v_add_f64 v[186:187], v[92:93], v[186:187]
	v_add_f64 v[188:189], v[94:95], v[188:189]
	;; [unrolled: 1-line block ×6, first 2 shown]
	v_fma_f64 v[196:197], v[198:199], -0.5, v[84:85]
	v_fma_f64 v[84:85], v[202:203], -0.5, v[84:85]
	v_fma_f64 v[231:232], v[178:179], s[10:11], v[215:216]
	v_fma_f64 v[215:216], v[178:179], s[0:1], v[215:216]
	;; [unrolled: 1-line block ×4, first 2 shown]
	v_fma_f64 v[198:199], v[205:206], -0.5, v[86:87]
	v_fma_f64 v[86:87], v[207:208], -0.5, v[86:87]
	v_add_f64 v[207:208], v[217:218], v[213:214]
	v_add_f64 v[182:183], v[219:220], v[182:183]
	v_fma_f64 v[217:218], v[138:139], s[0:1], v[209:210]
	v_add_f64 v[112:113], v[112:113], -v[64:65]
	v_add_f64 v[114:115], v[92:93], -v[48:49]
	v_add_f64 v[184:185], v[74:75], v[82:83]
	v_add_f64 v[98:99], v[82:83], -v[74:75]
	v_add_f64 v[235:236], v[100:101], -v[80:81]
	;; [unrolled: 1-line block ×6, first 2 shown]
	v_fma_f64 v[168:169], v[168:169], -0.5, v[52:53]
	v_fma_f64 v[52:53], v[170:171], -0.5, v[52:53]
	v_add_f64 v[80:81], v[80:81], v[227:228]
	v_add_f64 v[82:83], v[82:83], v[229:230]
	;; [unrolled: 1-line block ×3, first 2 shown]
	v_fma_f64 v[136:137], v[176:177], -0.5, v[56:57]
	v_fma_f64 v[56:57], v[180:181], -0.5, v[56:57]
	v_add_f64 v[225:226], v[10:11], v[102:103]
	v_fma_f64 v[209:210], v[138:139], s[10:11], v[209:210]
	v_fma_f64 v[170:171], v[172:173], -0.5, v[54:55]
	v_add_f64 v[102:103], v[102:103], -v[10:11]
	v_add_f64 v[202:203], v[74:75], -v[10:11]
	v_add_f64 v[213:214], v[12:13], v[40:41]
	v_add_f64 v[124:125], v[134:135], v[124:125]
	;; [unrolled: 1-line block ×8, first 2 shown]
	v_fma_f64 v[219:220], v[221:222], s[12:13], v[231:232]
	v_fma_f64 v[215:216], v[221:222], s[4:5], v[215:216]
	;; [unrolled: 1-line block ×6, first 2 shown]
	s_waitcnt vmcnt(0)
	v_add_f64 v[223:224], v[0:1], v[36:37]
	v_add_f64 v[146:147], v[162:163], v[152:153]
	;; [unrolled: 1-line block ×7, first 2 shown]
	v_fma_f64 v[104:105], v[120:121], s[10:11], v[196:197]
	v_fma_f64 v[106:107], v[120:121], s[0:1], v[196:197]
	;; [unrolled: 1-line block ×5, first 2 shown]
	v_add_f64 v[44:45], v[44:45], v[88:89]
	v_add_f64 v[46:47], v[46:47], v[90:91]
	s_mov_b32 s14, 0x372fe950
	s_mov_b32 s15, 0x3fd3c6ef
	v_add_f64 v[94:95], v[100:101], -v[8:9]
	v_add_f64 v[100:101], v[8:9], -v[72:73]
	;; [unrolled: 1-line block ×4, first 2 shown]
	v_fma_f64 v[54:55], v[174:175], -0.5, v[54:55]
	v_add_f64 v[172:173], v[14:15], v[42:43]
	v_add_f64 v[174:175], v[2:3], v[38:39]
	v_add_f64 v[72:73], v[72:73], v[80:81]
	v_add_f64 v[74:75], v[74:75], v[82:83]
	v_fma_f64 v[80:81], v[112:113], s[0:1], v[198:199]
	v_fma_f64 v[82:83], v[112:113], s[10:11], v[198:199]
	;; [unrolled: 1-line block ×7, first 2 shown]
	v_fma_f64 v[144:145], v[184:185], -0.5, v[58:59]
	v_fma_f64 v[58:59], v[225:226], -0.5, v[58:59]
	v_fma_f64 v[154:155], v[138:139], s[4:5], v[221:222]
	v_fma_f64 v[138:139], v[138:139], s[12:13], v[211:212]
	;; [unrolled: 1-line block ×11, first 2 shown]
	v_add_f64 v[90:91], v[202:203], v[190:191]
	v_fma_f64 v[170:171], v[96:97], s[10:11], v[170:171]
	v_fma_f64 v[186:187], v[102:103], s[10:11], v[136:137]
	;; [unrolled: 1-line block ×3, first 2 shown]
	v_add_f64 v[48:49], v[64:65], v[48:49]
	v_add_f64 v[190:191], v[66:67], v[50:51]
	;; [unrolled: 1-line block ×4, first 2 shown]
	v_fma_f64 v[64:65], v[122:123], s[12:13], v[104:105]
	v_fma_f64 v[66:67], v[122:123], s[4:5], v[106:107]
	;; [unrolled: 1-line block ×5, first 2 shown]
	v_add_f64 v[150:151], v[42:43], -v[14:15]
	v_fma_f64 v[152:153], v[223:224], -0.5, v[32:33]
	s_mov_b32 s16, 0x9b97f4a8
	s_mov_b32 s17, 0x3fe9e377
	v_add_f64 v[205:206], v[20:21], v[28:29]
	v_fma_f64 v[80:81], v[114:115], s[4:5], v[80:81]
	v_fma_f64 v[82:83], v[114:115], s[12:13], v[82:83]
	v_add_f64 v[100:101], v[100:101], v[235:236]
	v_fma_f64 v[86:87], v[112:113], s[12:13], v[86:87]
	v_add_f64 v[164:165], v[192:193], v[237:238]
	v_add_f64 v[88:89], v[194:195], v[239:240]
	v_fma_f64 v[56:57], v[102:103], s[4:5], v[56:57]
	v_fma_f64 v[184:185], v[108:109], s[10:11], v[54:55]
	;; [unrolled: 1-line block ×5, first 2 shown]
	v_add_f64 v[138:139], v[60:61], v[44:45]
	v_add_f64 v[142:143], v[62:63], v[46:47]
	v_add_f64 v[46:47], v[38:39], -v[2:3]
	v_fma_f64 v[60:61], v[213:214], -0.5, v[32:33]
	v_mul_f64 v[120:121], v[158:159], s[14:15]
	v_mul_f64 v[122:123], v[160:161], s[14:15]
	v_fma_f64 v[154:155], v[112:113], s[4:5], v[176:177]
	v_fma_f64 v[176:177], v[116:117], s[12:13], v[180:181]
	;; [unrolled: 1-line block ×3, first 2 shown]
	v_fma_f64 v[102:103], v[172:173], -0.5, v[34:35]
	v_fma_f64 v[172:173], v[174:175], -0.5, v[34:35]
	v_add_f64 v[174:175], v[40:41], -v[12:13]
	v_fma_f64 v[84:85], v[134:135], s[14:15], v[118:119]
	v_mul_f64 v[118:119], v[156:157], s[16:17]
	v_fma_f64 v[44:45], v[94:95], s[0:1], v[144:145]
	v_fma_f64 v[62:63], v[94:95], s[10:11], v[144:145]
	;; [unrolled: 1-line block ×7, first 2 shown]
	v_add_f64 v[182:183], v[36:37], -v[0:1]
	v_mul_f64 v[134:135], v[162:163], s[16:17]
	v_add_f64 v[168:169], v[4:5], v[16:17]
	v_fma_f64 v[108:109], v[108:109], s[12:13], v[170:171]
	v_fma_f64 v[178:179], v[98:99], s[12:13], v[186:187]
	;; [unrolled: 1-line block ×5, first 2 shown]
	v_add_f64 v[130:131], v[36:37], -v[40:41]
	v_add_f64 v[188:189], v[0:1], -v[12:13]
	;; [unrolled: 1-line block ×4, first 2 shown]
	v_fma_f64 v[198:199], v[150:151], s[0:1], v[152:153]
	v_fma_f64 v[152:153], v[150:151], s[10:11], v[152:153]
	;; [unrolled: 1-line block ×3, first 2 shown]
	v_add_f64 v[170:171], v[22:23], v[30:31]
	v_add_f64 v[136:137], v[6:7], v[18:19]
	v_fma_f64 v[80:81], v[126:127], s[14:15], v[80:81]
	v_fma_f64 v[82:83], v[126:127], s[14:15], v[82:83]
	;; [unrolled: 1-line block ×6, first 2 shown]
	v_fma_f64 v[122:123], v[106:107], s[10:11], -v[122:123]
	v_fma_f64 v[126:127], v[128:129], s[14:15], v[154:155]
	v_fma_f64 v[128:129], v[140:141], s[14:15], v[176:177]
	v_add_f64 v[154:155], v[42:43], -v[38:39]
	v_add_f64 v[176:177], v[14:15], -v[2:3]
	v_fma_f64 v[207:208], v[174:175], s[0:1], v[172:173]
	v_fma_f64 v[64:65], v[124:125], s[14:15], v[64:65]
	;; [unrolled: 1-line block ×9, first 2 shown]
	v_add_f64 v[140:141], v[38:39], -v[42:43]
	v_add_f64 v[144:145], v[2:3], -v[14:15]
	v_fma_f64 v[209:210], v[182:183], s[10:11], v[102:103]
	v_add_f64 v[114:115], v[18:19], -v[6:7]
	v_add_f64 v[186:187], v[16:17], v[24:25]
	v_fma_f64 v[66:67], v[124:125], s[14:15], v[66:67]
	v_fma_f64 v[134:135], v[84:85], s[12:13], -v[134:135]
	v_fma_f64 v[116:117], v[146:147], s[14:15], v[116:117]
	v_fma_f64 v[108:109], v[146:147], s[14:15], v[108:109]
	v_fma_f64 v[146:147], v[205:206], -0.5, v[24:25]
	v_fma_f64 v[178:179], v[100:101], s[14:15], v[178:179]
	v_fma_f64 v[98:99], v[100:101], s[14:15], v[98:99]
	v_add_f64 v[100:101], v[30:31], -v[22:23]
	v_fma_f64 v[168:169], v[168:169], -0.5, v[24:25]
	v_add_f64 v[130:131], v[188:189], v[130:131]
	v_add_f64 v[32:33], v[36:37], v[32:33]
	v_fma_f64 v[36:37], v[182:183], s[0:1], v[102:103]
	v_fma_f64 v[102:103], v[174:175], s[10:11], v[172:173]
	v_add_f64 v[172:173], v[196:197], v[194:195]
	v_fma_f64 v[152:153], v[46:47], s[4:5], v[152:153]
	v_add_f64 v[124:125], v[18:19], v[26:27]
	v_fma_f64 v[188:189], v[150:151], s[12:13], v[192:193]
	v_fma_f64 v[192:193], v[46:47], s[12:13], v[198:199]
	;; [unrolled: 1-line block ×5, first 2 shown]
	v_fma_f64 v[170:171], v[170:171], -0.5, v[26:27]
	v_add_f64 v[180:181], v[16:17], -v[4:5]
	v_add_f64 v[34:35], v[38:39], v[34:35]
	v_fma_f64 v[184:185], v[96:97], s[4:5], v[184:185]
	v_fma_f64 v[96:97], v[96:97], s[12:13], v[54:55]
	;; [unrolled: 1-line block ×3, first 2 shown]
	v_add_f64 v[54:55], v[68:69], -v[120:121]
	v_add_f64 v[56:57], v[68:69], v[120:121]
	v_add_f64 v[58:59], v[70:71], v[122:123]
	v_add_f64 v[24:25], v[70:71], -v[122:123]
	v_fma_f64 v[68:69], v[136:137], -0.5, v[26:27]
	v_add_f64 v[70:71], v[28:29], -v[20:21]
	v_add_f64 v[120:121], v[176:177], v[154:155]
	v_fma_f64 v[122:123], v[182:183], s[12:13], v[207:208]
	v_add_f64 v[46:47], v[64:65], v[118:119]
	v_add_f64 v[52:53], v[64:65], -v[118:119]
	v_add_f64 v[118:119], v[144:145], v[140:141]
	v_fma_f64 v[136:137], v[174:175], s[12:13], v[209:210]
	v_add_f64 v[44:45], v[50:51], v[48:49]
	v_add_f64 v[50:51], v[48:49], -v[50:51]
	v_add_f64 v[48:49], v[66:67], v[134:135]
	v_add_f64 v[64:65], v[16:17], -v[28:29]
	v_add_f64 v[38:39], v[4:5], -v[20:21]
	;; [unrolled: 1-line block ×4, first 2 shown]
	v_fma_f64 v[66:67], v[114:115], s[10:11], v[146:147]
	v_fma_f64 v[134:135], v[114:115], s[0:1], v[146:147]
	v_add_f64 v[140:141], v[20:21], -v[4:5]
	v_add_f64 v[28:29], v[28:29], v[186:187]
	v_fma_f64 v[144:145], v[100:101], s[0:1], v[168:169]
	v_fma_f64 v[146:147], v[100:101], s[10:11], v[168:169]
	v_add_f64 v[32:33], v[40:41], v[32:33]
	v_fma_f64 v[36:37], v[174:175], s[4:5], v[36:37]
	v_fma_f64 v[40:41], v[182:183], s[4:5], v[102:103]
	;; [unrolled: 1-line block ×6, first 2 shown]
	v_add_f64 v[124:125], v[30:31], v[124:125]
	v_fma_f64 v[94:95], v[90:91], s[14:15], v[94:95]
	v_add_f64 v[154:155], v[18:19], -v[30:31]
	v_add_f64 v[18:19], v[30:31], -v[18:19]
	;; [unrolled: 1-line block ×3, first 2 shown]
	v_fma_f64 v[60:61], v[88:89], s[14:15], v[62:63]
	v_fma_f64 v[62:63], v[180:181], s[0:1], v[170:171]
	v_mul_f64 v[158:159], v[158:159], s[0:1]
	v_add_f64 v[34:35], v[42:43], v[34:35]
	v_add_f64 v[172:173], v[22:23], -v[6:7]
	v_fma_f64 v[170:171], v[180:181], s[10:11], v[170:171]
	v_fma_f64 v[174:175], v[70:71], s[10:11], v[68:69]
	;; [unrolled: 1-line block ×4, first 2 shown]
	v_mul_f64 v[156:157], v[156:157], s[4:5]
	v_fma_f64 v[88:89], v[88:89], s[14:15], v[202:203]
	v_mul_f64 v[106:107], v[106:107], s[14:15]
	v_fma_f64 v[122:123], v[118:119], s[14:15], v[136:137]
	v_fma_f64 v[90:91], v[90:91], s[14:15], v[92:93]
	v_mul_f64 v[92:93], v[178:179], s[16:17]
	v_mul_f64 v[136:137], v[178:179], s[4:5]
	;; [unrolled: 1-line block ×3, first 2 shown]
	v_add_f64 v[38:39], v[38:39], v[64:65]
	v_mul_f64 v[64:65], v[150:151], s[14:15]
	v_mul_f64 v[150:151], v[150:151], s[0:1]
	v_fma_f64 v[66:67], v[100:101], s[12:13], v[66:67]
	v_fma_f64 v[100:101], v[100:101], s[4:5], v[134:135]
	v_add_f64 v[16:17], v[140:141], v[16:17]
	v_mul_f64 v[134:135], v[164:165], s[14:15]
	v_mul_f64 v[140:141], v[98:99], s[16:17]
	v_fma_f64 v[144:145], v[114:115], s[12:13], v[144:145]
	v_fma_f64 v[114:115], v[114:115], s[4:5], v[146:147]
	v_add_f64 v[20:21], v[20:21], v[28:29]
	v_add_f64 v[12:13], v[12:13], v[32:33]
	v_fma_f64 v[28:29], v[118:119], s[14:15], v[36:37]
	v_fma_f64 v[32:33], v[120:121], s[14:15], v[40:41]
	v_mul_f64 v[40:41], v[168:169], s[14:15]
	v_mul_f64 v[118:119], v[152:153], s[14:15]
	;; [unrolled: 1-line block ×5, first 2 shown]
	v_add_f64 v[22:23], v[22:23], v[124:125]
	v_add_f64 v[30:31], v[30:31], v[154:155]
	v_mul_f64 v[124:125], v[60:61], s[16:17]
	v_fma_f64 v[62:63], v[70:71], s[4:5], v[62:63]
	v_fma_f64 v[104:105], v[104:105], s[14:15], v[158:159]
	v_add_f64 v[14:15], v[14:15], v[34:35]
	v_mul_f64 v[34:35], v[102:103], s[4:5]
	v_fma_f64 v[146:147], v[148:149], s[14:15], v[184:185]
	v_fma_f64 v[96:97], v[148:149], s[14:15], v[96:97]
	v_add_f64 v[148:149], v[8:9], v[72:73]
	v_add_f64 v[8:9], v[172:173], v[18:19]
	v_fma_f64 v[18:19], v[180:181], s[4:5], v[174:175]
	v_fma_f64 v[42:43], v[180:181], s[12:13], v[42:43]
	v_mul_f64 v[102:103], v[168:169], s[0:1]
	v_mul_f64 v[154:155], v[68:69], s[14:15]
	v_fma_f64 v[70:71], v[70:71], s[12:13], v[170:171]
	v_fma_f64 v[78:79], v[78:79], s[16:17], v[156:157]
	v_mul_f64 v[156:157], v[122:123], s[16:17]
	v_fma_f64 v[106:107], v[160:161], s[0:1], -v[106:107]
	v_fma_f64 v[92:93], v[88:89], s[12:13], v[92:93]
	v_fma_f64 v[160:161], v[90:91], s[10:11], v[64:65]
	;; [unrolled: 1-line block ×5, first 2 shown]
	v_fma_f64 v[84:85], v[162:163], s[4:5], -v[84:85]
	v_fma_f64 v[88:89], v[94:95], s[10:11], -v[134:135]
	;; [unrolled: 1-line block ×3, first 2 shown]
	v_fma_f64 v[94:95], v[38:39], s[14:15], v[66:67]
	v_fma_f64 v[140:141], v[16:17], s[14:15], v[144:145]
	v_add_f64 v[38:39], v[4:5], v[20:21]
	v_fma_f64 v[114:115], v[16:17], s[14:15], v[114:115]
	v_add_f64 v[144:145], v[0:1], v[12:13]
	v_add_f64 v[158:159], v[10:11], v[74:75]
	v_fma_f64 v[40:41], v[32:33], s[10:11], v[40:41]
	v_fma_f64 v[118:119], v[68:69], s[10:11], -v[118:119]
	v_fma_f64 v[120:121], v[122:123], s[12:13], -v[120:121]
	v_fma_f64 v[36:37], v[28:29], s[12:13], v[36:37]
	v_fma_f64 v[134:135], v[164:165], s[0:1], -v[176:177]
	v_add_f64 v[122:123], v[6:7], v[22:23]
	v_add_f64 v[60:61], v[76:77], v[190:191]
	v_fma_f64 v[98:99], v[98:99], s[4:5], -v[124:125]
	v_fma_f64 v[124:125], v[30:31], s[14:15], v[62:63]
	v_add_f64 v[66:67], v[126:127], -v[104:105]
	v_add_f64 v[68:69], v[126:127], v[104:105]
	v_add_f64 v[126:127], v[2:3], v[14:15]
	v_fma_f64 v[164:165], v[28:29], s[16:17], v[34:35]
	v_add_f64 v[74:75], v[190:191], -v[76:77]
	v_add_f64 v[0:1], v[148:149], v[138:139]
	v_add_f64 v[10:11], v[138:139], -v[148:149]
	v_fma_f64 v[104:105], v[8:9], s[14:15], v[18:19]
	v_fma_f64 v[168:169], v[8:9], s[14:15], v[42:43]
	v_fma_f64 v[102:103], v[32:33], s[14:15], v[102:103]
	v_fma_f64 v[152:153], v[152:153], s[0:1], -v[154:155]
	v_fma_f64 v[162:163], v[30:31], s[14:15], v[70:71]
	v_add_f64 v[62:63], v[80:81], v[78:79]
	v_fma_f64 v[130:131], v[130:131], s[4:5], -v[156:157]
	v_add_f64 v[70:71], v[86:87], v[106:107]
	v_add_f64 v[2:3], v[112:113], v[92:93]
	;; [unrolled: 1-line block ×3, first 2 shown]
	v_add_f64 v[12:13], v[112:113], -v[92:93]
	v_add_f64 v[14:15], v[128:129], -v[160:161]
	;; [unrolled: 1-line block ×3, first 2 shown]
	v_add_f64 v[72:73], v[82:83], v[84:85]
	v_add_f64 v[6:7], v[132:133], v[88:89]
	;; [unrolled: 1-line block ×3, first 2 shown]
	v_add_f64 v[16:17], v[132:133], -v[88:89]
	v_add_f64 v[18:19], v[110:111], -v[90:91]
	;; [unrolled: 1-line block ×4, first 2 shown]
	v_add_f64 v[20:21], v[144:145], v[38:39]
	v_add_f64 v[34:35], v[38:39], -v[144:145]
	v_add_f64 v[28:29], v[140:141], v[40:41]
	v_add_f64 v[38:39], v[140:141], -v[40:41]
	v_add_f64 v[40:41], v[114:115], -v[118:119]
	;; [unrolled: 1-line block ×3, first 2 shown]
	v_add_f64 v[22:23], v[94:95], v[36:37]
	v_add_f64 v[30:31], v[114:115], v[118:119]
	;; [unrolled: 1-line block ×3, first 2 shown]
	v_add_f64 v[36:37], v[94:95], -v[36:37]
	v_add_f64 v[84:85], v[146:147], v[150:151]
	v_add_f64 v[86:87], v[96:97], v[134:135]
	;; [unrolled: 1-line block ×3, first 2 shown]
	v_add_f64 v[92:93], v[116:117], -v[136:137]
	v_add_f64 v[94:95], v[146:147], -v[150:151]
	v_add_f64 v[98:99], v[108:109], -v[98:99]
	v_add_f64 v[109:110], v[126:127], v[122:123]
	v_add_f64 v[111:112], v[124:125], v[164:165]
	;; [unrolled: 1-line block ×4, first 2 shown]
	v_add_f64 v[90:91], v[142:143], -v[158:159]
	v_add_f64 v[96:97], v[96:97], -v[134:135]
	v_add_f64 v[113:114], v[104:105], v[102:103]
	v_add_f64 v[115:116], v[168:169], v[152:153]
	v_mul_u32_u24_e32 v100, 10, v204
	v_add_nc_u32_e32 v148, 0x51, v204
	v_add_f64 v[117:118], v[162:163], v[130:131]
	v_add_f64 v[119:120], v[122:123], -v[126:127]
	v_add_f64 v[121:122], v[124:125], -v[164:165]
	;; [unrolled: 1-line block ×5, first 2 shown]
	v_lshl_add_u32 v100, v100, 3, 0
	v_and_b32_e32 v102, 0xff, v204
	v_and_b32_e32 v103, 0xff, v148
	v_add_nc_u32_e32 v153, 0xa2, v204
	s_load_b64 s[2:3], s[2:3], 0x0
	v_mad_i32_i24 v205, 0xffffffb8, v204, v100
	v_mul_lo_u16 v101, 0xcd, v102
	v_mul_lo_u16 v104, 0xcd, v103
	ds_store_b128 v100, v[44:47]
	ds_store_b128 v100, v[56:59] offset:16
	ds_store_b128 v100, v[48:51] offset:32
	;; [unrolled: 1-line block ×13, first 2 shown]
	v_add_nc_u32_e32 v178, 0x1800, v205
	v_add_nc_u32_e32 v171, 0x800, v205
	;; [unrolled: 1-line block ×4, first 2 shown]
	v_lshrrev_b16 v107, 11, v101
	v_lshrrev_b16 v108, 11, v104
	v_add_nc_u32_e32 v179, 0x3000, v205
	v_add_nc_u32_e32 v173, 0x2000, v205
	v_add_nc_u32_e32 v180, 0x1000, v205
	v_add_nc_u32_e32 v174, 0x3800, v205
	v_add_nc_u32_e32 v181, 0x2c00, v205
	v_add_nc_u32_e32 v170, 0x1c00, v205
	v_add_nc_u32_e32 v175, 0xc00, v205
	v_add_nc_u32_e32 v172, 0x3400, v205
	v_add_nc_u32_e32 v176, 0x2800, v205
	ds_store_b128 v100, v[40:43] offset:13024
	s_waitcnt lgkmcnt(0)
	s_barrier
	buffer_gl0_inv
	ds_load_2addr_b64 v[16:19], v205 offset1:81
	ds_load_2addr_b64 v[56:59], v178 offset0:42 offset1:123
	ds_load_2addr_b64 v[52:55], v179 offset0:84 offset1:165
	;; [unrolled: 1-line block ×14, first 2 shown]
	s_waitcnt lgkmcnt(0)
	s_barrier
	buffer_gl0_inv
	ds_store_b128 v100, v[60:63]
	ds_store_b128 v100, v[68:71] offset:16
	v_mul_lo_u16 v60, v107, 10
	v_mul_lo_u16 v61, v108, 10
	v_add_nc_u32_e32 v183, 0xf3, v204
	v_and_b32_e32 v154, 0xff, v153
	ds_store_b128 v100, v[72:75] offset:32
	ds_store_b128 v100, v[64:67] offset:48
	v_sub_nc_u16 v60, v204, v60
	v_sub_nc_u16 v61, v148, v61
	v_and_b32_e32 v155, 0xffff, v183
	v_mul_lo_u16 v62, 0xcd, v154
	ds_store_b128 v100, v[76:79] offset:64
	ds_store_b128 v100, v[80:83] offset:6480
	v_and_b32_e32 v105, 0xff, v60
	v_and_b32_e32 v104, 0xff, v61
	ds_store_b128 v100, v[84:87] offset:6496
	ds_store_b128 v100, v[88:91] offset:6512
	;; [unrolled: 1-line block ×6, first 2 shown]
	v_mul_u32_u24_e32 v63, 0xcccd, v155
	v_lshrrev_b16 v113, 11, v62
	v_lshlrev_b32_e32 v60, 5, v105
	v_lshlrev_b32_e32 v61, 5, v104
	v_add_nc_u32_e32 v184, 0x144, v204
	v_lshrrev_b32_e32 v112, 19, v63
	v_mul_lo_u16 v62, v113, 10
	ds_store_b128 v100, v[117:120] offset:12992
	ds_store_b128 v100, v[121:124] offset:13008
	;; [unrolled: 1-line block ×3, first 2 shown]
	s_waitcnt lgkmcnt(0)
	s_barrier
	buffer_gl0_inv
	s_clause 0x3
	global_load_b128 v[98:101], v60, s[8:9]
	global_load_b128 v[124:127], v61, s[8:9]
	global_load_b128 v[128:131], v60, s[8:9] offset:16
	global_load_b128 v[132:135], v61, s[8:9] offset:16
	v_and_b32_e32 v157, 0xffff, v184
	v_mul_lo_u16 v63, v112, 10
	v_sub_nc_u16 v62, v153, v62
	v_add_nc_u32_e32 v185, 0x195, v204
	v_add_nc_u32_e32 v186, 0x1e6, v204
	v_mul_u32_u24_e32 v65, 0xcccd, v157
	v_sub_nc_u16 v60, v183, v63
	v_and_b32_e32 v114, 0xff, v62
	v_and_b32_e32 v156, 0xffff, v185
	;; [unrolled: 1-line block ×3, first 2 shown]
	v_lshrrev_b32_e32 v109, 19, v65
	v_and_b32_e32 v115, 0xffff, v60
	v_lshlrev_b32_e32 v60, 5, v114
	v_mul_u32_u24_e32 v72, 0xcccd, v156
	s_clause 0x1
	global_load_b128 v[136:139], v60, s[8:9]
	global_load_b128 v[60:63], v60, s[8:9] offset:16
	v_mul_lo_u16 v73, v109, 10
	v_lshrrev_b32_e32 v106, 19, v72
	v_mul_u32_u24_e32 v72, 0xcccd, v150
	v_lshlrev_b32_e32 v64, 5, v115
	v_add_nc_u32_e32 v187, 0x237, v204
	v_sub_nc_u16 v73, v184, v73
	v_mul_lo_u16 v74, v106, 10
	v_lshrrev_b32_e32 v110, 19, v72
	global_load_b128 v[68:71], v64, s[8:9]
	v_and_b32_e32 v149, 0xffff, v187
	v_and_b32_e32 v111, 0xffff, v73
	v_sub_nc_u16 v72, v185, v74
	v_mul_lo_u16 v73, v110, 10
	v_add_nc_u32_e32 v188, 0x288, v204
	v_add_nc_u32_e32 v189, 0x2d9, v204
	v_lshlrev_b32_e32 v74, 5, v111
	v_and_b32_e32 v118, 0xffff, v72
	v_sub_nc_u16 v81, v186, v73
	s_clause 0x2
	global_load_b128 v[64:67], v64, s[8:9] offset:16
	global_load_b128 v[76:79], v74, s[8:9]
	global_load_b128 v[72:75], v74, s[8:9] offset:16
	v_mul_u32_u24_e32 v80, 0xcccd, v149
	v_and_b32_e32 v152, 0xffff, v188
	v_and_b32_e32 v121, 0xffff, v81
	v_lshlrev_b32_e32 v81, 5, v118
	v_and_b32_e32 v151, 0xffff, v189
	v_lshrrev_b32_e32 v116, 19, v80
	v_mul_u32_u24_e32 v80, 0xcccd, v152
	s_clause 0x1
	global_load_b128 v[140:143], v81, s[8:9]
	global_load_b128 v[144:147], v81, s[8:9] offset:16
	v_mul_u32_u24_e32 v81, 0xcccd, v151
	v_mul_lo_u16 v82, v116, 10
	v_lshrrev_b32_e32 v120, 19, v80
	v_lshlrev_b32_e32 v80, 5, v121
	s_clause 0x1
	global_load_b128 v[158:161], v80, s[8:9]
	global_load_b128 v[162:165], v80, s[8:9] offset:16
	v_lshrrev_b32_e32 v117, 19, v81
	v_mul_lo_u16 v83, v120, 10
	v_sub_nc_u16 v82, v187, v82
	v_and_b32_e32 v107, 0xffff, v107
	v_lshlrev_b32_e32 v105, 3, v105
	v_mul_lo_u16 v81, v117, 10
	v_sub_nc_u16 v80, v188, v83
	v_and_b32_e32 v122, 0xffff, v82
	s_mov_b32 s4, 0xe8584caa
	s_mov_b32 s5, 0x3febb67a
	v_sub_nc_u16 v81, v189, v81
	v_and_b32_e32 v123, 0xffff, v80
	v_lshlrev_b32_e32 v80, 5, v122
	s_clause 0x1
	global_load_b128 v[88:91], v80, s[8:9]
	global_load_b128 v[84:87], v80, s[8:9] offset:16
	v_and_b32_e32 v119, 0xffff, v81
	v_lshlrev_b32_e32 v82, 5, v123
	s_clause 0x1
	global_load_b128 v[92:95], v82, s[8:9]
	global_load_b128 v[190:193], v82, s[8:9] offset:16
	v_lshlrev_b32_e32 v80, 5, v119
	s_clause 0x1
	global_load_b128 v[194:197], v80, s[8:9]
	global_load_b128 v[80:83], v80, s[8:9] offset:16
	ds_load_2addr_b64 v[206:209], v178 offset0:42 offset1:123
	ds_load_2addr_b64 v[210:213], v179 offset0:84 offset1:165
	;; [unrolled: 1-line block ×6, first 2 shown]
	s_mov_b32 s11, 0xbfebb67a
	s_mov_b32 s10, s4
	v_mul_u32_u24_e32 v109, 0xf0, v109
	v_lshlrev_b32_e32 v111, 3, v111
	v_lshlrev_b32_e32 v121, 3, v121
	;; [unrolled: 1-line block ×3, first 2 shown]
	v_cmp_gt_u32_e64 s0, 9, v204
	s_waitcnt vmcnt(19) lgkmcnt(5)
	v_mul_f64 v[96:97], v[206:207], v[100:101]
	v_mul_f64 v[100:101], v[56:57], v[100:101]
	s_waitcnt vmcnt(18)
	v_mul_f64 v[168:169], v[208:209], v[126:127]
	s_waitcnt vmcnt(17) lgkmcnt(4)
	v_mul_f64 v[198:199], v[210:211], v[130:131]
	s_waitcnt vmcnt(16)
	v_mul_f64 v[202:203], v[212:213], v[134:135]
	v_mul_f64 v[126:127], v[58:59], v[126:127]
	;; [unrolled: 1-line block ×4, first 2 shown]
	s_waitcnt vmcnt(15) lgkmcnt(3)
	v_mul_f64 v[230:231], v[214:215], v[138:139]
	v_mul_f64 v[138:139], v[48:49], v[138:139]
	s_waitcnt vmcnt(14) lgkmcnt(2)
	v_mul_f64 v[234:235], v[218:219], v[62:63]
	s_waitcnt vmcnt(13)
	v_mul_f64 v[232:233], v[216:217], v[70:71]
	v_fma_f64 v[96:97], v[56:57], v[98:99], -v[96:97]
	v_fma_f64 v[98:99], v[206:207], v[98:99], v[100:101]
	s_waitcnt vmcnt(12)
	v_mul_f64 v[236:237], v[220:221], v[66:67]
	v_fma_f64 v[56:57], v[58:59], v[124:125], -v[168:169]
	v_mul_f64 v[168:169], v[50:51], v[70:71]
	v_fma_f64 v[70:71], v[52:53], v[128:129], -v[198:199]
	;; [unrolled: 2-line block ×3, first 2 shown]
	s_waitcnt vmcnt(11) lgkmcnt(1)
	v_mul_f64 v[202:203], v[222:223], v[78:79]
	s_waitcnt vmcnt(10) lgkmcnt(0)
	v_mul_f64 v[206:207], v[226:227], v[74:75]
	v_fma_f64 v[100:101], v[208:209], v[124:125], v[126:127]
	ds_load_2addr_b64 v[124:127], v176 offset0:16 offset1:97
	v_fma_f64 v[52:53], v[210:211], v[128:129], v[130:131]
	ds_load_2addr_b64 v[128:131], v177 offset0:58 offset1:139
	v_fma_f64 v[62:63], v[212:213], v[132:133], v[134:135]
	v_mul_f64 v[208:209], v[46:47], v[66:67]
	s_waitcnt vmcnt(8)
	v_mul_f64 v[210:211], v[228:229], v[146:147]
	v_mul_f64 v[78:79], v[28:29], v[78:79]
	;; [unrolled: 1-line block ×3, first 2 shown]
	v_fma_f64 v[54:55], v[48:49], v[136:137], -v[230:231]
	v_fma_f64 v[66:67], v[214:215], v[136:137], v[138:139]
	ds_load_2addr_b64 v[132:135], v181 offset0:50 offset1:131
	ds_load_2addr_b64 v[136:139], v182 offset0:92 offset1:173
	v_fma_f64 v[44:45], v[44:45], v[60:61], -v[234:235]
	v_mul_u32_u24_e32 v234, 0xf0, v112
	v_fma_f64 v[48:49], v[50:51], v[68:69], -v[232:233]
	v_mul_f64 v[50:51], v[224:225], v[142:143]
	s_waitcnt vmcnt(7) lgkmcnt(3)
	v_mul_f64 v[212:213], v[124:125], v[160:161]
	s_waitcnt vmcnt(6) lgkmcnt(2)
	v_mul_f64 v[214:215], v[128:129], v[164:165]
	v_mul_u32_u24_e32 v232, 0xf0, v107
	v_and_b32_e32 v233, 0xffff, v108
	v_mul_f64 v[164:165], v[36:37], v[164:165]
	s_delay_alu instid0(VALU_DEP_3)
	v_add3_u32 v232, 0, v232, v105
	v_fma_f64 v[46:47], v[46:47], v[64:65], -v[236:237]
	s_waitcnt vmcnt(4)
	v_mul_f64 v[107:108], v[130:131], v[86:87]
	v_fma_f64 v[68:69], v[216:217], v[68:69], v[168:169]
	v_mul_f64 v[168:169], v[126:127], v[90:91]
	v_fma_f64 v[60:61], v[218:219], v[60:61], v[198:199]
	v_and_b32_e32 v218, 0xffff, v113
	s_waitcnt vmcnt(3) lgkmcnt(1)
	v_mul_f64 v[216:217], v[132:133], v[94:95]
	s_waitcnt vmcnt(2) lgkmcnt(0)
	v_mul_f64 v[230:231], v[136:137], v[192:193]
	v_fma_f64 v[198:199], v[28:29], v[76:77], -v[202:203]
	v_fma_f64 v[202:203], v[24:25], v[72:73], -v[206:207]
	v_mul_f64 v[24:25], v[30:31], v[142:143]
	v_mul_f64 v[28:29], v[26:27], v[146:147]
	s_waitcnt vmcnt(1)
	v_mul_f64 v[112:113], v[134:135], v[196:197]
	s_waitcnt vmcnt(0)
	v_mul_f64 v[142:143], v[138:139], v[82:83]
	v_fma_f64 v[64:65], v[220:221], v[64:65], v[208:209]
	v_mul_f64 v[146:147], v[20:21], v[160:161]
	v_fma_f64 v[206:207], v[26:27], v[144:145], -v[210:211]
	v_mul_u32_u24_e32 v219, 0xf0, v233
	v_add_f64 v[160:161], v[56:57], v[58:59]
	v_lshlrev_b32_e32 v26, 3, v114
	v_lshlrev_b32_e32 v233, 3, v115
	v_fma_f64 v[76:77], v[222:223], v[76:77], v[78:79]
	v_mul_f64 v[78:79], v[22:23], v[90:91]
	v_mul_f64 v[86:87], v[38:39], v[86:87]
	v_mul_f64 v[94:95], v[32:33], v[94:95]
	v_fma_f64 v[72:73], v[226:227], v[72:73], v[74:75]
	v_mul_f64 v[82:83], v[42:43], v[82:83]
	v_add_f64 v[210:211], v[18:19], v[56:57]
	v_fma_f64 v[50:51], v[30:31], v[140:141], -v[50:51]
	v_add_f64 v[30:31], v[96:97], v[70:71]
	v_fma_f64 v[208:209], v[20:21], v[158:159], -v[212:213]
	v_fma_f64 v[36:37], v[36:37], v[162:163], -v[214:215]
	v_lshlrev_b32_e32 v20, 3, v104
	v_add_f64 v[104:105], v[54:55], v[44:45]
	v_fma_f64 v[128:129], v[128:129], v[162:163], v[164:165]
	v_add_f64 v[214:215], v[100:101], -v[62:63]
	v_add_f64 v[162:163], v[10:11], v[48:49]
	v_add_f64 v[114:115], v[48:49], v[46:47]
	v_fma_f64 v[38:39], v[38:39], v[84:85], -v[107:108]
	v_mul_f64 v[107:108], v[40:41], v[192:193]
	v_fma_f64 v[90:91], v[22:23], v[88:89], -v[168:169]
	v_mul_f64 v[168:169], v[34:35], v[196:197]
	v_add_f64 v[196:197], v[98:99], -v[52:53]
	v_fma_f64 v[192:193], v[32:33], v[92:93], -v[216:217]
	v_fma_f64 v[40:41], v[40:41], v[190:191], -v[230:231]
	v_add_f64 v[164:165], v[66:67], -v[60:61]
	v_add_f64 v[74:75], v[198:199], v[202:203]
	v_fma_f64 v[140:141], v[224:225], v[140:141], v[24:25]
	v_fma_f64 v[144:145], v[228:229], v[144:145], v[28:29]
	v_fma_f64 v[112:113], v[34:35], v[194:195], -v[112:113]
	v_fma_f64 v[42:43], v[42:43], v[80:81], -v[142:143]
	v_add_f64 v[142:143], v[16:17], v[96:97]
	v_fma_f64 v[124:125], v[124:125], v[158:159], v[146:147]
	v_add_f64 v[158:159], v[8:9], v[54:55]
	v_mul_u32_u24_e32 v21, 0xf0, v218
	v_fma_f64 v[160:161], v[160:161], -0.5, v[18:19]
	v_add3_u32 v235, 0, v219, v20
	v_fma_f64 v[78:79], v[126:127], v[88:89], v[78:79]
	v_fma_f64 v[84:85], v[130:131], v[84:85], v[86:87]
	;; [unrolled: 1-line block ×3, first 2 shown]
	v_add_f64 v[126:127], v[76:77], -v[72:73]
	v_add_f64 v[130:131], v[66:67], v[60:61]
	v_add_f64 v[132:133], v[68:69], v[64:65]
	v_add3_u32 v230, 0, v21, v26
	v_add_f64 v[216:217], v[50:51], v[206:207]
	v_fma_f64 v[212:213], v[30:31], -0.5, v[16:17]
	ds_load_2addr_b64 v[20:23], v205 offset1:81
	ds_load_2addr_b64 v[24:27], v205 offset0:162 offset1:243
	v_add_f64 v[146:147], v[208:209], v[36:37]
	ds_load_2addr_b64 v[16:19], v171 offset0:68 offset1:149
	ds_load_2addr_b64 v[28:31], v175 offset0:102 offset1:183
	;; [unrolled: 1-line block ×3, first 2 shown]
	v_fma_f64 v[8:9], v[104:105], -0.5, v[8:9]
	v_add_f64 v[104:105], v[68:69], -v[64:65]
	s_waitcnt lgkmcnt(0)
	s_barrier
	v_fma_f64 v[10:11], v[114:115], -0.5, v[10:11]
	v_add_f64 v[114:115], v[4:5], v[198:199]
	v_fma_f64 v[94:95], v[136:137], v[190:191], v[107:108]
	v_add_f64 v[88:89], v[90:91], v[38:39]
	v_fma_f64 v[92:93], v[134:135], v[194:195], v[168:169]
	v_add_f64 v[168:169], v[210:211], v[58:59]
	v_add_f64 v[210:211], v[0:1], v[208:209]
	;; [unrolled: 1-line block ×4, first 2 shown]
	v_fma_f64 v[4:5], v[74:75], -0.5, v[4:5]
	v_fma_f64 v[74:75], v[138:139], v[80:81], v[82:83]
	v_add_f64 v[80:81], v[98:99], v[52:53]
	v_add_f64 v[82:83], v[100:101], v[62:63]
	;; [unrolled: 1-line block ×3, first 2 shown]
	v_add_f64 v[136:137], v[140:141], -v[144:145]
	v_add_f64 v[142:143], v[142:143], v[70:71]
	v_add_f64 v[222:223], v[14:15], v[112:113]
	;; [unrolled: 1-line block ×5, first 2 shown]
	buffer_gl0_inv
	v_add_f64 v[68:69], v[26:27], v[68:69]
	v_add_f64 v[70:71], v[96:97], -v[70:71]
	v_add_f64 v[96:97], v[56:57], -v[58:59]
	v_fma_f64 v[24:25], v[130:131], -0.5, v[24:25]
	v_fma_f64 v[26:27], v[132:133], -0.5, v[26:27]
	v_add_f64 v[132:133], v[124:125], v[128:129]
	v_fma_f64 v[6:7], v[216:217], -0.5, v[6:7]
	v_fma_f64 v[190:191], v[196:197], s[4:5], v[212:213]
	v_fma_f64 v[194:195], v[196:197], s[10:11], v[212:213]
	v_add_f64 v[212:213], v[124:125], -v[128:129]
	v_fma_f64 v[0:1], v[146:147], -0.5, v[0:1]
	v_fma_f64 v[196:197], v[214:215], s[4:5], v[160:161]
	v_add_f64 v[146:147], v[158:159], v[44:45]
	v_add_f64 v[158:159], v[162:163], v[46:47]
	v_fma_f64 v[160:161], v[214:215], s[10:11], v[160:161]
	v_fma_f64 v[162:163], v[164:165], s[4:5], v[8:9]
	;; [unrolled: 1-line block ×5, first 2 shown]
	v_add_f64 v[104:105], v[76:77], v[72:73]
	v_add_f64 v[214:215], v[2:3], v[90:91]
	v_add_f64 v[216:217], v[78:79], -v[84:85]
	v_fma_f64 v[2:3], v[88:89], -0.5, v[2:3]
	v_add_f64 v[88:89], v[12:13], v[192:193]
	v_add_f64 v[218:219], v[86:87], -v[94:95]
	v_fma_f64 v[12:13], v[107:108], -0.5, v[12:13]
	;; [unrolled: 3-line block ×3, first 2 shown]
	v_add_f64 v[114:115], v[114:115], v[202:203]
	v_fma_f64 v[220:221], v[126:127], s[4:5], v[4:5]
	v_fma_f64 v[4:5], v[126:127], s[10:11], v[4:5]
	v_fma_f64 v[20:21], v[80:81], -0.5, v[20:21]
	v_fma_f64 v[22:23], v[82:83], -0.5, v[22:23]
	v_add_f64 v[80:81], v[134:135], v[206:207]
	v_add_f64 v[126:127], v[210:211], v[36:37]
	v_add3_u32 v138, 0, v234, v233
	v_add3_u32 v139, 0, v109, v111
	ds_store_2addr_b64 v232, v[142:143], v[190:191] offset1:10
	ds_store_b64 v232, v[194:195] offset:160
	ds_store_2addr_b64 v235, v[168:169], v[196:197] offset1:10
	v_fma_f64 v[130:131], v[212:213], s[4:5], v[0:1]
	v_fma_f64 v[0:1], v[212:213], s[10:11], v[0:1]
	;; [unrolled: 1-line block ×4, first 2 shown]
	v_add_f64 v[134:135], v[78:79], v[84:85]
	ds_store_b64 v235, v[160:161] offset:160
	ds_store_2addr_b64 v230, v[146:147], v[162:163] offset1:10
	ds_store_b64 v230, v[8:9] offset:160
	ds_store_2addr_b64 v138, v[158:159], v[164:165] offset1:10
	v_add_f64 v[76:77], v[16:17], v[76:77]
	v_mul_u32_u24_e32 v142, 0xf0, v106
	ds_store_b64 v138, v[10:11] offset:160
	v_fma_f64 v[16:17], v[104:105], -0.5, v[16:17]
	v_add_f64 v[8:9], v[214:215], v[38:39]
	v_mul_u32_u24_e32 v143, 0xf0, v110
	v_fma_f64 v[10:11], v[216:217], s[4:5], v[2:3]
	v_add_f64 v[88:89], v[88:89], v[40:41]
	v_fma_f64 v[2:3], v[216:217], s[10:11], v[2:3]
	v_fma_f64 v[136:137], v[218:219], s[4:5], v[12:13]
	v_fma_f64 v[104:105], v[107:108], -0.5, v[18:19]
	v_add_f64 v[106:107], v[86:87], v[94:95]
	v_add_f64 v[108:109], v[92:93], v[74:75]
	v_fma_f64 v[12:13], v[218:219], s[10:11], v[12:13]
	v_fma_f64 v[110:111], v[224:225], s[4:5], v[14:15]
	;; [unrolled: 1-line block ×3, first 2 shown]
	ds_store_2addr_b64 v139, v[114:115], v[220:221] offset1:10
	v_add_f64 v[114:115], v[222:223], v[42:43]
	v_add_f64 v[44:45], v[54:55], -v[44:45]
	v_add_f64 v[46:47], v[48:49], -v[46:47]
	v_add3_u32 v143, 0, v143, v121
	v_add3_u32 v142, 0, v142, v118
	ds_store_b64 v139, v[4:5] offset:160
	ds_store_2addr_b64 v142, v[80:81], v[82:83] offset1:10
	ds_store_b64 v142, v[6:7] offset:160
	ds_store_2addr_b64 v143, v[126:127], v[130:131] offset1:10
	v_mul_u32_u24_e32 v4, 0xf0, v116
	v_lshlrev_b32_e32 v5, 3, v122
	v_mul_u32_u24_e32 v6, 0xf0, v120
	v_lshlrev_b32_e32 v7, 3, v123
	ds_store_b64 v143, v[0:1] offset:160
	v_mul_u32_u24_e32 v0, 0xf0, v117
	v_lshlrev_b32_e32 v1, 3, v119
	v_add3_u32 v122, 0, v4, v5
	v_add3_u32 v123, 0, v6, v7
	v_add_f64 v[18:19], v[18:19], v[140:141]
	v_add_f64 v[80:81], v[28:29], v[124:125]
	v_add3_u32 v126, 0, v0, v1
	v_fma_f64 v[82:83], v[132:133], -0.5, v[28:29]
	v_fma_f64 v[124:125], v[134:135], -0.5, v[30:31]
	v_add_f64 v[78:79], v[30:31], v[78:79]
	ds_store_2addr_b64 v122, v[8:9], v[10:11] offset1:10
	ds_store_b64 v122, v[2:3] offset:160
	ds_store_2addr_b64 v123, v[88:89], v[136:137] offset1:10
	v_add_f64 v[86:87], v[32:33], v[86:87]
	v_fma_f64 v[32:33], v[106:107], -0.5, v[32:33]
	v_add_f64 v[106:107], v[50:51], -v[206:207]
	v_fma_f64 v[108:109], v[108:109], -0.5, v[34:35]
	v_add_f64 v[36:37], v[208:209], -v[36:37]
	ds_store_b64 v123, v[12:13] offset:160
	ds_store_2addr_b64 v126, v[114:115], v[110:111] offset1:10
	v_add_f64 v[12:13], v[90:91], -v[38:39]
	ds_store_b64 v126, v[14:15] offset:160
	v_add_f64 v[14:15], v[192:193], -v[40:41]
	v_add_f64 v[38:39], v[112:113], -v[42:43]
	;; [unrolled: 1-line block ×3, first 2 shown]
	v_add_f64 v[34:35], v[34:35], v[92:93]
	v_add_f64 v[90:91], v[98:99], v[52:53]
	v_fma_f64 v[92:93], v[70:71], s[10:11], v[20:21]
	v_fma_f64 v[70:71], v[70:71], s[4:5], v[20:21]
	v_add_f64 v[62:63], v[100:101], v[62:63]
	v_fma_f64 v[98:99], v[96:97], s[10:11], v[22:23]
	v_add_f64 v[60:61], v[66:67], v[60:61]
	v_fma_f64 v[66:67], v[44:45], s[10:11], v[24:25]
	v_fma_f64 v[96:97], v[96:97], s[4:5], v[22:23]
	;; [unrolled: 1-line block ×3, first 2 shown]
	v_add_f64 v[64:65], v[68:69], v[64:65]
	v_fma_f64 v[68:69], v[46:47], s[10:11], v[26:27]
	v_fma_f64 v[110:111], v[46:47], s[4:5], v[26:27]
	v_add_f64 v[72:73], v[76:77], v[72:73]
	s_waitcnt lgkmcnt(0)
	s_barrier
	buffer_gl0_inv
	ds_load_2addr_b64 v[8:11], v205 offset1:81
	ds_load_2addr_b64 v[56:59], v178 offset0:42 offset1:123
	ds_load_2addr_b64 v[52:55], v179 offset0:84 offset1:165
	;; [unrolled: 1-line block ×7, first 2 shown]
	v_add_f64 v[112:113], v[18:19], v[144:145]
	v_add_f64 v[80:81], v[80:81], v[128:129]
	ds_load_2addr_b64 v[24:27], v174 offset0:152 offset1:233
	v_add_f64 v[78:79], v[78:79], v[84:85]
	v_add_f64 v[86:87], v[86:87], v[94:95]
	v_fma_f64 v[114:115], v[106:107], s[10:11], v[104:105]
	v_fma_f64 v[104:105], v[106:107], s[4:5], v[104:105]
	;; [unrolled: 1-line block ×11, first 2 shown]
	v_add_f64 v[74:75], v[34:35], v[74:75]
	v_fma_f64 v[88:89], v[88:89], s[4:5], v[16:17]
	ds_load_2addr_b64 v[12:15], v175 offset0:102 offset1:183
	ds_load_2addr_b64 v[40:43], v176 offset0:16 offset1:97
	ds_load_2addr_b64 v[44:47], v177 offset0:58 offset1:139
	ds_load_2addr_b64 v[16:19], v180 offset0:136 offset1:217
	ds_load_2addr_b64 v[32:35], v181 offset0:50 offset1:131
	ds_load_2addr_b64 v[36:39], v182 offset0:92 offset1:173
	s_waitcnt lgkmcnt(0)
	s_barrier
	buffer_gl0_inv
	ds_store_2addr_b64 v232, v[90:91], v[92:93] offset1:10
	ds_store_b64 v232, v[70:71] offset:160
	ds_store_2addr_b64 v235, v[62:63], v[98:99] offset1:10
	ds_store_b64 v235, v[96:97] offset:160
	v_mul_lo_u16 v62, 0x89, v102
	ds_store_2addr_b64 v230, v[60:61], v[66:67] offset1:10
	ds_store_b64 v230, v[100:101] offset:160
	ds_store_2addr_b64 v138, v[64:65], v[68:69] offset1:10
	v_mul_lo_u16 v60, 0x89, v103
	ds_store_b64 v138, v[110:111] offset:160
	ds_store_2addr_b64 v139, v[72:73], v[76:77] offset1:10
	ds_store_b64 v139, v[88:89] offset:160
	v_lshrrev_b16 v160, 12, v62
	v_lshrrev_b16 v161, 12, v60
	ds_store_2addr_b64 v142, v[112:113], v[114:115] offset1:10
	ds_store_b64 v142, v[104:105] offset:160
	ds_store_2addr_b64 v143, v[80:81], v[106:107] offset1:10
	ds_store_b64 v143, v[82:83] offset:160
	;; [unrolled: 2-line block ×3, first 2 shown]
	v_mul_lo_u16 v60, v160, 30
	v_mul_lo_u16 v61, v161, 30
	ds_store_2addr_b64 v123, v[86:87], v[94:95] offset1:10
	ds_store_b64 v123, v[118:119] offset:160
	ds_store_2addr_b64 v126, v[74:75], v[120:121] offset1:10
	ds_store_b64 v126, v[108:109] offset:160
	v_sub_nc_u16 v60, v204, v60
	v_sub_nc_u16 v61, v148, v61
	s_waitcnt lgkmcnt(0)
	s_barrier
	buffer_gl0_inv
	v_and_b32_e32 v159, 0xff, v60
	v_mul_lo_u16 v60, 0x89, v154
	v_and_b32_e32 v158, 0xff, v61
	v_mul_u32_u24_e32 v61, 0x8889, v155
	v_mul_u32_u24_e32 v94, 0x8889, v150
	v_lshlrev_b32_e32 v64, 5, v159
	v_lshrrev_b16 v165, 12, v60
	v_lshlrev_b32_e32 v65, 5, v158
	v_lshrrev_b32_e32 v164, 20, v61
	v_lshrrev_b32_e32 v191, 20, v94
	s_clause 0x1
	global_load_b128 v[72:75], v64, s[8:9] offset:320
	global_load_b128 v[68:71], v64, s[8:9] offset:336
	v_mul_lo_u16 v66, v165, 30
	global_load_b128 v[60:63], v65, s[8:9] offset:320
	v_mul_lo_u16 v67, v164, 30
	v_mul_u32_u24_e32 v95, 0x8889, v151
	v_and_b32_e32 v216, 0xffff, v165
	v_sub_nc_u16 v66, v153, v66
	v_mul_u32_u24_e32 v218, 0x2d0, v164
	v_sub_nc_u16 v76, v183, v67
	v_lshrrev_b32_e32 v198, 20, v95
	v_and_b32_e32 v160, 0xffff, v160
	v_and_b32_e32 v162, 0xff, v66
	global_load_b128 v[64:67], v65, s[8:9] offset:336
	v_and_b32_e32 v163, 0xffff, v76
	v_mul_u32_u24_e32 v76, 0x8889, v157
	v_mul_lo_u16 v104, v198, 30
	v_lshlrev_b32_e32 v77, 5, v162
	v_mul_u32_u24_e32 v229, 0x2d0, v198
	v_lshlrev_b32_e32 v88, 5, v163
	v_lshrrev_b32_e32 v168, 20, v76
	v_mul_u32_u24_e32 v76, 0x8889, v156
	s_clause 0x1
	global_load_b128 v[84:87], v77, s[8:9] offset:320
	global_load_b128 v[80:83], v88, s[8:9] offset:320
	v_sub_nc_u16 v108, v189, v104
	v_mul_lo_u16 v89, v168, 30
	v_lshrrev_b32_e32 v169, 20, v76
	global_load_b128 v[76:79], v77, s[8:9] offset:336
	v_mul_u32_u24_e32 v219, 0x2d0, v168
	v_and_b32_e32 v194, 0xffff, v108
	v_sub_nc_u16 v92, v184, v89
	global_load_b128 v[88:91], v88, s[8:9] offset:336
	v_mul_lo_u16 v93, v169, 30
	v_mul_u32_u24_e32 v220, 0x2d0, v169
	v_lshlrev_b32_e32 v136, 5, v194
	v_and_b32_e32 v190, 0xffff, v92
	v_lshlrev_b32_e32 v221, 3, v162
	v_sub_nc_u16 v92, v185, v93
	v_mul_u32_u24_e32 v93, 0x8889, v149
	v_lshlrev_b32_e32 v222, 3, v163
	v_lshlrev_b32_e32 v94, 5, v190
	v_mul_u32_u24_e32 v160, 0x2d0, v160
	v_and_b32_e32 v192, 0xffff, v92
	v_lshrrev_b32_e32 v193, 20, v93
	v_mul_u32_u24_e32 v93, 0x8889, v152
	v_mul_lo_u16 v92, v191, 30
	global_load_b128 v[96:99], v94, s[8:9] offset:320
	v_lshlrev_b32_e32 v100, 5, v192
	v_mul_lo_u16 v101, v193, 30
	v_lshrrev_b32_e32 v199, 20, v93
	v_sub_nc_u16 v102, v186, v92
	v_and_b32_e32 v161, 0xffff, v161
	global_load_b128 v[124:127], v100, s[8:9] offset:320
	v_sub_nc_u16 v101, v187, v101
	v_mul_lo_u16 v103, v199, 30
	v_and_b32_e32 v196, 0xffff, v102
	global_load_b128 v[92:95], v94, s[8:9] offset:336
	v_mul_u32_u24_e32 v228, 0x2d0, v199
	v_and_b32_e32 v195, 0xffff, v101
	v_sub_nc_u16 v105, v188, v103
	global_load_b128 v[100:103], v100, s[8:9] offset:336
	v_lshlrev_b32_e32 v112, 5, v196
	v_lshlrev_b32_e32 v159, 3, v159
	;; [unrolled: 1-line block ×3, first 2 shown]
	v_and_b32_e32 v197, 0xffff, v105
	v_mul_u32_u24_e32 v226, 0x2d0, v191
	global_load_b128 v[104:107], v112, s[8:9] offset:320
	v_add3_u32 v230, 0, v160, v159
	global_load_b128 v[108:111], v113, s[8:9] offset:320
	v_lshlrev_b32_e32 v128, 5, v197
	s_clause 0x5
	global_load_b128 v[116:119], v112, s[8:9] offset:336
	global_load_b128 v[120:123], v113, s[8:9] offset:336
	;; [unrolled: 1-line block ×6, first 2 shown]
	ds_load_2addr_b64 v[144:147], v178 offset0:42 offset1:123
	ds_load_2addr_b64 v[140:143], v179 offset0:84 offset1:165
	;; [unrolled: 1-line block ×4, first 2 shown]
	v_lshlrev_b32_e32 v191, 3, v158
	v_mul_u32_u24_e32 v227, 0x2d0, v193
	v_lshlrev_b32_e32 v224, 3, v192
	v_lshlrev_b32_e32 v223, 3, v190
	v_lshlrev_b32_e32 v231, 3, v196
	v_lshlrev_b32_e32 v235, 3, v195
	v_lshlrev_b32_e32 v236, 3, v197
	v_add3_u32 v234, 0, v218, v222
	v_add3_u32 v237, 0, v219, v223
	;; [unrolled: 1-line block ×6, first 2 shown]
	s_waitcnt vmcnt(19) lgkmcnt(3)
	v_mul_f64 v[202:203], v[144:145], v[74:75]
	s_waitcnt vmcnt(18) lgkmcnt(2)
	v_mul_f64 v[164:165], v[140:141], v[70:71]
	v_mul_f64 v[70:71], v[52:53], v[70:71]
	s_waitcnt vmcnt(17)
	v_mul_f64 v[214:215], v[146:147], v[62:63]
	v_mul_f64 v[62:63], v[58:59], v[62:63]
	;; [unrolled: 1-line block ×3, first 2 shown]
	s_waitcnt vmcnt(16)
	v_mul_f64 v[168:169], v[142:143], v[66:67]
	v_mul_f64 v[198:199], v[54:55], v[66:67]
	v_mul_u32_u24_e32 v67, 0x2d0, v216
	v_mul_u32_u24_e32 v66, 0x2d0, v161
	ds_load_2addr_b64 v[158:161], v173 offset0:110 offset1:191
	v_add3_u32 v233, 0, v67, v221
	v_add3_u32 v232, 0, v66, v191
	s_waitcnt vmcnt(15) lgkmcnt(2)
	v_mul_f64 v[216:217], v[206:207], v[86:87]
	v_mul_f64 v[86:87], v[48:49], v[86:87]
	s_waitcnt vmcnt(14)
	v_mul_f64 v[162:163], v[208:209], v[82:83]
	v_mul_f64 v[82:83], v[50:51], v[82:83]
	s_waitcnt vmcnt(13) lgkmcnt(1)
	v_mul_f64 v[190:191], v[210:211], v[78:79]
	v_fma_f64 v[192:193], v[56:57], v[72:73], -v[202:203]
	v_fma_f64 v[164:165], v[52:53], v[68:69], -v[164:165]
	v_fma_f64 v[140:141], v[140:141], v[68:69], v[70:71]
	v_fma_f64 v[202:203], v[58:59], v[60:61], -v[214:215]
	ds_load_2addr_b64 v[56:59], v174 offset0:152 offset1:233
	v_fma_f64 v[146:147], v[146:147], v[60:61], v[62:63]
	ds_load_2addr_b64 v[60:63], v176 offset0:16 offset1:97
	ds_load_2addr_b64 v[66:69], v177 offset0:58 offset1:139
	v_fma_f64 v[144:145], v[144:145], v[72:73], v[74:75]
	ds_load_2addr_b64 v[70:73], v182 offset0:92 offset1:173
	v_mul_f64 v[74:75], v[28:29], v[78:79]
	s_waitcnt vmcnt(12)
	v_mul_f64 v[78:79], v[212:213], v[90:91]
	v_mul_f64 v[90:91], v[30:31], v[90:91]
	v_fma_f64 v[168:169], v[54:55], v[64:65], -v[168:169]
	ds_load_2addr_b64 v[52:55], v181 offset0:50 offset1:131
	s_waitcnt vmcnt(11) lgkmcnt(5)
	v_mul_f64 v[195:196], v[158:159], v[98:99]
	v_mul_f64 v[98:99], v[20:21], v[98:99]
	v_fma_f64 v[64:65], v[142:143], v[64:65], v[198:199]
	s_waitcnt vmcnt(10)
	v_mul_f64 v[142:143], v[160:161], v[126:127]
	v_mul_f64 v[126:127], v[22:23], v[126:127]
	v_fma_f64 v[214:215], v[48:49], v[84:85], -v[216:217]
	v_fma_f64 v[84:85], v[206:207], v[84:85], v[86:87]
	s_waitcnt vmcnt(9) lgkmcnt(4)
	v_mul_f64 v[197:198], v[56:57], v[94:95]
	v_mul_f64 v[86:87], v[24:25], v[94:95]
	s_waitcnt vmcnt(8)
	v_mul_f64 v[94:95], v[58:59], v[102:103]
	v_fma_f64 v[162:163], v[50:51], v[80:81], -v[162:163]
	s_waitcnt vmcnt(7) lgkmcnt(3)
	v_mul_f64 v[206:207], v[60:61], v[106:107]
	v_fma_f64 v[80:81], v[208:209], v[80:81], v[82:83]
	v_mul_f64 v[82:83], v[40:41], v[106:107]
	s_waitcnt vmcnt(5) lgkmcnt(2)
	v_mul_f64 v[208:209], v[66:67], v[118:119]
	v_mul_f64 v[106:107], v[62:63], v[110:111]
	s_waitcnt vmcnt(4)
	v_mul_f64 v[216:217], v[68:69], v[122:123]
	s_waitcnt vmcnt(3) lgkmcnt(0)
	v_mul_f64 v[218:219], v[52:53], v[114:115]
	s_waitcnt vmcnt(2)
	v_mul_f64 v[220:221], v[70:71], v[130:131]
	s_waitcnt vmcnt(1)
	;; [unrolled: 2-line block ×3, first 2 shown]
	v_mul_f64 v[224:225], v[72:73], v[138:139]
	v_mul_f64 v[102:103], v[26:27], v[102:103]
	v_mul_f64 v[130:131], v[36:37], v[130:131]
	v_fma_f64 v[190:191], v[28:29], v[76:77], -v[190:191]
	v_mul_f64 v[114:115], v[32:33], v[114:115]
	v_fma_f64 v[210:211], v[210:211], v[76:77], v[74:75]
	v_fma_f64 v[78:79], v[30:31], v[88:89], -v[78:79]
	v_fma_f64 v[88:89], v[212:213], v[88:89], v[90:91]
	v_mul_f64 v[90:91], v[42:43], v[110:111]
	v_mul_f64 v[110:111], v[44:45], v[118:119]
	;; [unrolled: 1-line block ×3, first 2 shown]
	v_fma_f64 v[122:123], v[20:21], v[96:97], -v[195:196]
	v_fma_f64 v[96:97], v[158:159], v[96:97], v[98:99]
	v_mul_f64 v[98:99], v[34:35], v[134:135]
	v_mul_f64 v[134:135], v[38:39], v[138:139]
	v_fma_f64 v[138:139], v[22:23], v[124:125], -v[142:143]
	v_fma_f64 v[124:125], v[160:161], v[124:125], v[126:127]
	v_lshlrev_b32_e32 v20, 3, v194
	v_fma_f64 v[126:127], v[24:25], v[92:93], -v[197:198]
	v_fma_f64 v[56:57], v[56:57], v[92:93], v[86:87]
	v_fma_f64 v[86:87], v[26:27], v[100:101], -v[94:95]
	s_delay_alu instid0(VALU_DEP_4)
	v_add3_u32 v239, 0, v229, v20
	v_fma_f64 v[40:41], v[40:41], v[104:105], -v[206:207]
	ds_load_2addr_b64 v[20:23], v205 offset1:81
	ds_load_2addr_b64 v[28:31], v205 offset0:162 offset1:243
	ds_load_2addr_b64 v[48:51], v171 offset0:68 offset1:149
	v_fma_f64 v[44:45], v[44:45], v[116:117], -v[208:209]
	v_fma_f64 v[42:43], v[42:43], v[108:109], -v[106:107]
	;; [unrolled: 1-line block ×7, first 2 shown]
	v_fma_f64 v[92:93], v[58:59], v[100:101], v[102:103]
	v_fma_f64 v[58:59], v[60:61], v[104:105], v[82:83]
	v_add_f64 v[82:83], v[202:203], v[168:169]
	v_add_f64 v[94:95], v[214:215], v[190:191]
	v_fma_f64 v[52:53], v[52:53], v[112:113], v[114:115]
	ds_load_2addr_b64 v[74:77], v175 offset0:102 offset1:183
	v_add_f64 v[100:101], v[146:147], v[64:65]
	ds_load_2addr_b64 v[24:27], v180 offset0:136 offset1:217
	v_add_f64 v[106:107], v[8:9], v[192:193]
	v_add_f64 v[114:115], v[4:5], v[214:215]
	;; [unrolled: 1-line block ×3, first 2 shown]
	s_waitcnt lgkmcnt(4)
	v_add_f64 v[112:113], v[22:23], v[146:147]
	v_add_f64 v[104:105], v[80:81], v[88:89]
	v_fma_f64 v[60:61], v[62:63], v[108:109], v[90:91]
	v_fma_f64 v[62:63], v[66:67], v[116:117], v[110:111]
	;; [unrolled: 1-line block ×4, first 2 shown]
	v_add_f64 v[70:71], v[192:193], v[164:165]
	v_fma_f64 v[54:55], v[54:55], v[132:133], v[98:99]
	v_add_f64 v[98:99], v[162:163], v[78:79]
	v_fma_f64 v[72:73], v[72:73], v[136:137], v[134:135]
	v_add_f64 v[90:91], v[144:145], v[140:141]
	v_add_f64 v[110:111], v[20:21], v[144:145]
	v_add_f64 v[144:145], v[144:145], -v[140:141]
	v_add_f64 v[128:129], v[122:123], v[126:127]
	v_add_f64 v[136:137], v[96:97], v[56:57]
	;; [unrolled: 1-line block ×4, first 2 shown]
	v_add_f64 v[146:147], v[146:147], -v[64:65]
	s_waitcnt lgkmcnt(3)
	v_add_f64 v[118:119], v[28:29], v[84:85]
	v_add_f64 v[84:85], v[84:85], -v[210:211]
	v_add_f64 v[142:143], v[40:41], v[44:45]
	v_add_f64 v[116:117], v[6:7], v[162:163]
	;; [unrolled: 1-line block ×5, first 2 shown]
	v_add_f64 v[80:81], v[80:81], -v[88:89]
	v_add_f64 v[206:207], v[34:35], v[38:39]
	v_add_f64 v[158:159], v[124:125], v[92:93]
	v_add_f64 v[132:133], v[0:1], v[122:123]
	v_fma_f64 v[10:11], v[82:83], -0.5, v[10:11]
	v_fma_f64 v[4:5], v[94:95], -0.5, v[4:5]
	s_waitcnt lgkmcnt(2)
	v_add_f64 v[194:195], v[48:49], v[96:97]
	v_add_f64 v[96:97], v[96:97], -v[56:57]
	v_add_f64 v[134:135], v[2:3], v[138:139]
	v_add_f64 v[198:199], v[50:51], v[124:125]
	v_add_f64 v[124:125], v[124:125], -v[92:93]
	v_add_f64 v[208:209], v[12:13], v[40:41]
	s_waitcnt lgkmcnt(1)
	v_add_f64 v[220:221], v[74:75], v[58:59]
	v_add_f64 v[212:213], v[14:15], v[42:43]
	;; [unrolled: 1-line block ×7, first 2 shown]
	v_fma_f64 v[8:9], v[70:71], -0.5, v[8:9]
	v_add_f64 v[58:59], v[58:59], -v[62:63]
	v_fma_f64 v[6:7], v[98:99], -0.5, v[6:7]
	v_add_f64 v[60:61], v[60:61], -v[66:67]
	s_waitcnt lgkmcnt(0)
	v_add_f64 v[82:83], v[24:25], v[52:53]
	v_add_f64 v[52:53], v[52:53], -v[68:69]
	v_add_f64 v[226:227], v[18:19], v[34:35]
	v_fma_f64 v[0:1], v[128:129], -0.5, v[0:1]
	v_add_f64 v[70:71], v[54:55], v[72:73]
	v_fma_f64 v[2:3], v[130:131], -0.5, v[2:3]
	v_add_f64 v[94:95], v[26:27], v[54:55]
	v_add_f64 v[54:55], v[54:55], -v[72:73]
	v_add_f64 v[98:99], v[192:193], -v[164:165]
	v_fma_f64 v[20:21], v[90:91], -0.5, v[20:21]
	v_fma_f64 v[12:13], v[142:143], -0.5, v[12:13]
	v_add_f64 v[192:193], v[202:203], -v[168:169]
	v_fma_f64 v[14:15], v[160:161], -0.5, v[14:15]
	v_fma_f64 v[22:23], v[100:101], -0.5, v[22:23]
	v_fma_f64 v[16:17], v[196:197], -0.5, v[16:17]
	v_add_f64 v[202:203], v[214:215], -v[190:191]
	v_fma_f64 v[18:19], v[206:207], -0.5, v[18:19]
	v_fma_f64 v[28:29], v[102:103], -0.5, v[28:29]
	v_add_f64 v[162:163], v[162:163], -v[78:79]
	v_fma_f64 v[30:31], v[104:105], -0.5, v[30:31]
	v_add_f64 v[122:123], v[122:123], -v[126:127]
	v_fma_f64 v[48:49], v[136:137], -0.5, v[48:49]
	v_add_f64 v[90:91], v[106:107], v[164:165]
	v_add_f64 v[138:139], v[138:139], -v[86:87]
	v_add_f64 v[100:101], v[108:109], v[168:169]
	v_fma_f64 v[108:109], v[146:147], s[4:5], v[10:11]
	v_fma_f64 v[50:51], v[158:159], -0.5, v[50:51]
	v_fma_f64 v[10:11], v[146:147], s[10:11], v[10:11]
	v_add_f64 v[40:41], v[40:41], -v[44:45]
	v_add_f64 v[102:103], v[114:115], v[190:191]
	v_fma_f64 v[114:115], v[84:85], s[4:5], v[4:5]
	v_fma_f64 v[74:75], v[216:217], -0.5, v[74:75]
	v_fma_f64 v[4:5], v[84:85], s[10:11], v[4:5]
	v_add_f64 v[78:79], v[116:117], v[78:79]
	v_fma_f64 v[106:107], v[144:145], s[4:5], v[8:9]
	v_fma_f64 v[8:9], v[144:145], s[10:11], v[8:9]
	;; [unrolled: 1-line block ×4, first 2 shown]
	v_add_f64 v[104:105], v[132:133], v[126:127]
	v_add_f64 v[32:33], v[32:33], -v[36:37]
	v_add_f64 v[86:87], v[134:135], v[86:87]
	v_fma_f64 v[80:81], v[96:97], s[4:5], v[0:1]
	v_fma_f64 v[0:1], v[96:97], s[10:11], v[0:1]
	;; [unrolled: 1-line block ×3, first 2 shown]
	v_fma_f64 v[24:25], v[228:229], -0.5, v[24:25]
	v_add_f64 v[42:43], v[42:43], -v[46:47]
	v_fma_f64 v[2:3], v[124:125], s[10:11], v[2:3]
	v_fma_f64 v[76:77], v[218:219], -0.5, v[76:77]
	v_add_f64 v[44:45], v[208:209], v[44:45]
	v_fma_f64 v[116:117], v[58:59], s[4:5], v[12:13]
	v_fma_f64 v[12:13], v[58:59], s[10:11], v[12:13]
	v_add_f64 v[46:47], v[212:213], v[46:47]
	v_fma_f64 v[58:59], v[60:61], s[4:5], v[14:15]
	v_fma_f64 v[14:15], v[60:61], s[10:11], v[14:15]
	;; [unrolled: 3-line block ×3, first 2 shown]
	v_add_f64 v[34:35], v[34:35], -v[38:39]
	v_add_f64 v[38:39], v[226:227], v[38:39]
	v_fma_f64 v[52:53], v[54:55], s[4:5], v[18:19]
	v_fma_f64 v[18:19], v[54:55], s[10:11], v[18:19]
	v_fma_f64 v[26:27], v[70:71], -0.5, v[26:27]
	v_add_f64 v[70:71], v[110:111], v[140:141]
	v_add_f64 v[110:111], v[118:119], v[210:211]
	v_fma_f64 v[118:119], v[98:99], s[10:11], v[20:21]
	v_fma_f64 v[98:99], v[98:99], s[4:5], v[20:21]
	v_add_f64 v[64:65], v[112:113], v[64:65]
	v_add_f64 v[88:89], v[120:121], v[88:89]
	v_fma_f64 v[120:121], v[192:193], s[10:11], v[22:23]
	v_fma_f64 v[124:125], v[192:193], s[4:5], v[22:23]
	;; [unrolled: 1-line block ×6, first 2 shown]
	s_barrier
	buffer_gl0_inv
	v_add_f64 v[112:113], v[194:195], v[56:57]
	ds_store_2addr_b64 v230, v[90:91], v[106:107] offset1:30
	ds_store_b64 v230, v[8:9] offset:480
	ds_store_2addr_b64 v232, v[100:101], v[108:109] offset1:30
	ds_store_b64 v232, v[10:11] offset:480
	;; [unrolled: 2-line block ×10, first 2 shown]
	v_fma_f64 v[60:61], v[122:123], s[10:11], v[48:49]
	v_fma_f64 v[78:79], v[122:123], s[4:5], v[48:49]
	v_add_f64 v[80:81], v[198:199], v[92:93]
	v_fma_f64 v[84:85], v[138:139], s[10:11], v[50:51]
	v_fma_f64 v[86:87], v[138:139], s[4:5], v[50:51]
	v_add_f64 v[62:63], v[220:221], v[62:63]
	;; [unrolled: 3-line block ×3, first 2 shown]
	v_fma_f64 v[82:83], v[32:33], s[10:11], v[24:25]
	v_add_f64 v[66:67], v[222:223], v[66:67]
	v_fma_f64 v[92:93], v[42:43], s[10:11], v[76:77]
	v_fma_f64 v[96:97], v[32:33], s[4:5], v[24:25]
	;; [unrolled: 1-line block ×3, first 2 shown]
	v_add_f64 v[72:73], v[94:95], v[72:73]
	v_mov_b32_e32 v203, 0
	s_waitcnt lgkmcnt(0)
	s_barrier
	buffer_gl0_inv
	v_fma_f64 v[94:95], v[34:35], s[10:11], v[26:27]
	v_fma_f64 v[100:101], v[34:35], s[4:5], v[26:27]
	ds_load_2addr_b64 v[8:11], v205 offset1:81
	ds_load_2addr_b64 v[56:59], v178 offset0:42 offset1:123
	ds_load_2addr_b64 v[52:55], v179 offset0:84 offset1:165
	v_mov_b32_e32 v191, v203
	ds_load_2addr_b64 v[16:19], v205 offset0:162 offset1:243
	ds_load_2addr_b64 v[48:51], v170 offset0:76 offset1:157
	v_mov_b32_e32 v193, v203
	ds_load_2addr_b64 v[44:47], v172 offset0:118 offset1:199
	ds_load_2addr_b64 v[12:15], v171 offset0:68 offset1:149
	;; [unrolled: 1-line block ×3, first 2 shown]
	v_mov_b32_e32 v207, v203
	ds_load_2addr_b64 v[36:39], v174 offset0:152 offset1:233
	ds_load_2addr_b64 v[4:7], v175 offset0:102 offset1:183
	;; [unrolled: 1-line block ×7, first 2 shown]
	s_waitcnt lgkmcnt(0)
	s_barrier
	buffer_gl0_inv
	ds_store_2addr_b64 v230, v[70:71], v[118:119] offset1:30
	ds_store_b64 v230, v[98:99] offset:480
	ds_store_2addr_b64 v232, v[64:65], v[120:121] offset1:30
	ds_store_b64 v232, v[124:125] offset:480
	;; [unrolled: 2-line block ×6, first 2 shown]
	ds_store_2addr_b64 v231, v[62:63], v[90:91] offset1:30
	v_add_nc_u32_e32 v60, -9, v204
	v_dual_mov_b32 v63, v203 :: v_dual_lshlrev_b32 v202, 1, v204
	v_mul_lo_u16 v70, 0xb7, v154
	v_mul_u32_u24_e32 v81, 0x2d83, v157
	s_delay_alu instid0(VALU_DEP_4) | instskip(NEXT) | instid1(VALU_DEP_4)
	v_cndmask_b32_e64 v144, v60, v148, s0
	v_lshlrev_b64 v[60:61], 4, v[202:203]
	ds_store_b64 v231, v[74:75] offset:480
	ds_store_2addr_b64 v235, v[66:67], v[92:93] offset1:30
	ds_store_b64 v235, v[76:77] offset:480
	v_lshlrev_b32_e32 v62, 1, v144
	ds_store_2addr_b64 v236, v[68:69], v[82:83] offset1:30
	ds_store_b64 v236, v[96:97] offset:480
	v_add_co_u32 v168, s0, s8, v60
	v_lshrrev_b16 v145, 14, v70
	v_lshlrev_b64 v[64:65], 4, v[62:63]
	v_mul_u32_u24_e32 v70, 0x2d83, v155
	v_lshrrev_b32_e32 v155, 20, v81
	v_mul_u32_u24_e32 v81, 0x2d83, v156
	v_mul_u32_u24_e32 v96, 0x2d83, v150
	v_add_co_ci_u32_e64 v169, s0, s9, v61, s0
	v_add_co_u32 v68, s0, s8, v64
	s_delay_alu instid0(VALU_DEP_1)
	v_add_co_ci_u32_e64 v69, s0, s9, v65, s0
	v_lshrrev_b32_e32 v158, 20, v81
	v_mul_u32_u24_e32 v102, 0x2d83, v149
	v_lshrrev_b32_e32 v159, 20, v96
	ds_store_2addr_b64 v239, v[72:73], v[94:95] offset1:30
	ds_store_b64 v239, v[100:101] offset:480
	s_waitcnt lgkmcnt(0)
	s_barrier
	buffer_gl0_inv
	s_clause 0x1
	global_load_b128 v[60:63], v[168:169], off offset:1280
	global_load_b128 v[64:67], v[68:69], off offset:1280
	v_mul_lo_u16 v82, 0x5a, v155
	v_mul_lo_u16 v86, 0x5a, v158
	v_lshrrev_b32_e32 v160, 20, v102
	v_mul_lo_u16 v108, 0x5a, v159
	v_mul_u32_u24_e32 v109, 0x2d83, v152
	v_sub_nc_u16 v85, v184, v82
	v_sub_nc_u16 v92, v185, v86
	v_mul_lo_u16 v110, 0x5a, v160
	v_sub_nc_u16 v108, v186, v108
	v_mul_lo_u16 v71, 0x5a, v145
	v_and_b32_e32 v157, 0xffff, v85
	v_and_b32_e32 v156, 0xffff, v92
	v_lshrrev_b32_e32 v165, 20, v109
	v_sub_nc_u16 v109, v187, v110
	v_and_b32_e32 v162, 0xffff, v108
	v_lshrrev_b32_e32 v147, 20, v70
	v_sub_nc_u16 v70, v153, v71
	v_lshlrev_b32_e32 v100, 5, v157
	v_lshlrev_b32_e32 v101, 5, v156
	v_and_b32_e32 v163, 0xffff, v109
	v_lshlrev_b32_e32 v109, 5, v162
	v_mul_lo_u16 v76, 0x5a, v147
	global_load_b128 v[72:75], v[168:169], off offset:1296
	v_and_b32_e32 v146, 0xff, v70
	s_clause 0x5
	global_load_b128 v[92:95], v100, s[8:9] offset:1280
	global_load_b128 v[104:107], v100, s[8:9] offset:1296
	;; [unrolled: 1-line block ×5, first 2 shown]
	global_load_b128 v[68:71], v[68:69], off offset:1296
	v_sub_nc_u16 v76, v183, v76
	v_lshlrev_b32_e32 v80, 5, v146
	v_mul_u32_u24_e32 v111, 0x2d83, v151
	v_mul_lo_u16 v110, 0x5a, v165
	v_lshlrev_b32_e32 v112, 5, v163
	v_and_b32_e32 v154, 0xffff, v76
	global_load_b128 v[76:79], v80, s[8:9] offset:1280
	v_lshrrev_b32_e32 v108, 20, v111
	v_sub_nc_u16 v110, v188, v110
	v_cmp_lt_u32_e64 s0, 8, v204
	v_lshlrev_b32_e32 v84, 5, v154
	v_subrev_nc_u32_e32 v194, 27, v204
	v_mul_lo_u16 v108, 0x5a, v108
	v_and_b32_e32 v164, 0xffff, v110
	v_cndmask_b32_e64 v199, 0, 0x870, s0
	s_clause 0x2
	global_load_b128 v[88:91], v84, s[8:9] offset:1280
	global_load_b128 v[80:83], v80, s[8:9] offset:1296
	;; [unrolled: 1-line block ×3, first 2 shown]
	v_sub_nc_u16 v113, v189, v108
	s_clause 0x1
	global_load_b128 v[116:119], v112, s[8:9] offset:1280
	global_load_b128 v[108:111], v109, s[8:9] offset:1296
	v_lshlrev_b32_e32 v132, 5, v164
	v_cmp_gt_u32_e64 s0, 27, v204
	v_lshlrev_b32_e32 v144, 3, v144
	v_and_b32_e32 v161, 0xffff, v113
	global_load_b128 v[112:115], v112, s[8:9] offset:1296
	v_lshlrev_b32_e32 v190, 1, v148
	v_cndmask_b32_e64 v194, v194, v183, s0
	v_lshlrev_b32_e32 v192, 1, v153
	v_lshlrev_b32_e32 v136, 5, v161
	s_clause 0x3
	global_load_b128 v[124:127], v132, s[8:9] offset:1280
	global_load_b128 v[128:131], v136, s[8:9] offset:1280
	;; [unrolled: 1-line block ×4, first 2 shown]
	ds_load_2addr_b64 v[140:143], v178 offset0:42 offset1:123
	ds_load_2addr_b64 v[195:198], v179 offset0:84 offset1:165
	v_lshlrev_b32_e32 v206, 1, v194
	ds_load_2addr_b64 v[210:213], v172 offset0:118 offset1:199
	v_add3_u32 v199, 0, v199, v144
	v_and_b32_e32 v153, 0xffff, v145
	v_mul_u32_u24_e32 v230, 0x870, v147
	v_lshlrev_b64 v[220:221], 4, v[206:207]
	ds_load_2addr_b64 v[206:209], v170 offset0:76 offset1:157
	v_mul_u32_u24_e32 v231, 0x870, v158
	v_mul_u32_u24_e32 v232, 0x870, v159
	v_lshlrev_b64 v[190:191], 4, v[190:191]
	v_add_co_u32 v222, s0, 0x1000, v168
	s_delay_alu instid0(VALU_DEP_1) | instskip(SKIP_1) | instid1(VALU_DEP_4)
	v_add_co_ci_u32_e64 v223, s0, 0, v169, s0
	v_lshlrev_b64 v[216:217], 4, v[192:193]
	v_add_co_u32 v192, s0, s8, v190
	s_delay_alu instid0(VALU_DEP_1) | instskip(SKIP_1) | instid1(VALU_DEP_1)
	v_add_co_ci_u32_e64 v193, s0, s9, v191, s0
	v_add_co_u32 v224, s0, 0x1040, v168
	v_add_co_ci_u32_e64 v225, s0, 0, v169, s0
	v_add_co_u32 v190, s0, s8, v216
	s_delay_alu instid0(VALU_DEP_1)
	v_add_co_ci_u32_e64 v191, s0, s9, v217, s0
	v_mul_u32_u24_e32 v233, 0x870, v160
	v_mul_u32_u24_e32 v160, 0x870, v153
	;; [unrolled: 1-line block ×3, first 2 shown]
	v_lshlrev_b32_e32 v146, 3, v146
	v_lshlrev_b32_e32 v238, 3, v163
	v_mul_u32_u24_e32 v234, 0x870, v165
	v_lshlrev_b32_e32 v239, 3, v164
	v_lshl_add_u32 v240, v161, 3, 0
	v_add3_u32 v235, 0, v160, v146
	v_lshlrev_b32_e32 v146, 3, v156
	v_add3_u32 v233, 0, v233, v238
	v_add3_u32 v234, 0, v234, v239
	v_add_nc_u32_e32 v238, 0x4000, v240
	s_delay_alu instid0(VALU_DEP_4)
	v_add3_u32 v241, 0, v231, v146
	s_waitcnt vmcnt(19) lgkmcnt(3)
	v_mul_f64 v[214:215], v[140:141], v[62:63]
	v_mul_f64 v[62:63], v[56:57], v[62:63]
	s_waitcnt vmcnt(18)
	v_mul_f64 v[218:219], v[142:143], v[66:67]
	v_mul_f64 v[66:67], v[58:59], v[66:67]
	s_waitcnt vmcnt(17) lgkmcnt(2)
	v_mul_f64 v[226:227], v[195:196], v[74:75]
	v_mul_f64 v[74:75], v[52:53], v[74:75]
	s_waitcnt vmcnt(11)
	v_mul_f64 v[228:229], v[197:198], v[70:71]
	v_mul_f64 v[70:71], v[54:55], v[70:71]
	s_waitcnt vmcnt(10) lgkmcnt(0)
	v_mul_f64 v[144:145], v[206:207], v[78:79]
	v_fma_f64 v[147:148], v[56:57], v[60:61], -v[214:215]
	v_fma_f64 v[140:141], v[140:141], v[60:61], v[62:63]
	ds_load_2addr_b64 v[60:63], v173 offset0:110 offset1:191
	v_fma_f64 v[214:215], v[58:59], v[64:65], -v[218:219]
	ds_load_2addr_b64 v[56:59], v174 offset0:152 offset1:233
	v_mul_f64 v[78:79], v[48:49], v[78:79]
	v_fma_f64 v[142:143], v[142:143], v[64:65], v[66:67]
	v_lshlrev_b32_e32 v64, 3, v154
	s_waitcnt vmcnt(9)
	v_mul_f64 v[158:159], v[208:209], v[90:91]
	v_mul_f64 v[90:91], v[50:51], v[90:91]
	s_waitcnt vmcnt(8)
	v_mul_f64 v[216:217], v[210:211], v[82:83]
	v_mul_f64 v[82:83], v[44:45], v[82:83]
	;; [unrolled: 3-line block ×3, first 2 shown]
	v_lshlrev_b32_e32 v65, 3, v157
	v_add3_u32 v236, 0, v230, v64
	v_lshlrev_b32_e32 v230, 3, v162
	s_delay_alu instid0(VALU_DEP_3)
	v_add3_u32 v237, 0, v155, v65
	ds_load_2addr_b64 v[64:67], v177 offset0:58 offset1:139
	v_add3_u32 v232, 0, v232, v230
	s_waitcnt lgkmcnt(2)
	v_mul_f64 v[218:219], v[60:61], v[94:95]
	v_fma_f64 v[226:227], v[52:53], v[72:73], -v[226:227]
	v_fma_f64 v[72:73], v[195:196], v[72:73], v[74:75]
	v_mul_f64 v[74:75], v[40:41], v[94:95]
	v_mul_f64 v[195:196], v[62:63], v[98:99]
	v_fma_f64 v[94:95], v[54:55], v[68:69], -v[228:229]
	s_waitcnt lgkmcnt(1)
	v_mul_f64 v[228:229], v[56:57], v[106:107]
	v_mul_f64 v[106:107], v[36:37], v[106:107]
	ds_load_2addr_b64 v[52:55], v176 offset0:16 offset1:97
	v_fma_f64 v[197:198], v[197:198], v[68:69], v[70:71]
	ds_load_2addr_b64 v[68:71], v182 offset0:92 offset1:173
	v_fma_f64 v[144:145], v[48:49], v[76:77], -v[144:145]
	v_fma_f64 v[76:77], v[206:207], v[76:77], v[78:79]
	v_mul_f64 v[78:79], v[58:59], v[102:103]
	v_add_co_u32 v206, s0, 0x1000, v192
	v_fma_f64 v[155:156], v[50:51], v[88:89], -v[158:159]
	ds_load_2addr_b64 v[48:51], v181 offset0:50 offset1:131
	v_fma_f64 v[88:89], v[208:209], v[88:89], v[90:91]
	v_mul_f64 v[90:91], v[42:43], v[98:99]
	v_mul_f64 v[98:99], v[38:39], v[102:103]
	v_fma_f64 v[102:103], v[44:45], v[80:81], -v[216:217]
	v_fma_f64 v[80:81], v[210:211], v[80:81], v[82:83]
	s_waitcnt lgkmcnt(2)
	v_mul_f64 v[82:83], v[52:53], v[122:123]
	v_mul_f64 v[122:123], v[32:33], v[122:123]
	v_fma_f64 v[153:154], v[46:47], v[84:85], -v[153:154]
	v_fma_f64 v[84:85], v[212:213], v[84:85], v[86:87]
	s_waitcnt vmcnt(5)
	v_mul_f64 v[86:87], v[64:65], v[110:111]
	v_mul_f64 v[110:111], v[28:29], v[110:111]
	;; [unrolled: 1-line block ×4, first 2 shown]
	s_waitcnt vmcnt(4)
	v_mul_f64 v[159:160], v[66:67], v[114:115]
	v_mul_f64 v[114:115], v[30:31], v[114:115]
	v_fma_f64 v[162:163], v[40:41], v[92:93], -v[218:219]
	v_fma_f64 v[74:75], v[60:61], v[92:93], v[74:75]
	v_fma_f64 v[164:165], v[42:43], v[96:97], -v[195:196]
	s_waitcnt vmcnt(0) lgkmcnt(1)
	v_mul_f64 v[210:211], v[70:71], v[138:139]
	s_waitcnt lgkmcnt(0)
	v_mul_f64 v[92:93], v[48:49], v[126:127]
	v_mul_f64 v[126:127], v[24:25], v[126:127]
	v_fma_f64 v[208:209], v[36:37], v[104:105], -v[228:229]
	v_fma_f64 v[104:105], v[56:57], v[104:105], v[106:107]
	v_mul_f64 v[106:107], v[68:69], v[134:135]
	v_mul_f64 v[134:135], v[20:21], v[134:135]
	;; [unrolled: 1-line block ×5, first 2 shown]
	v_add_co_ci_u32_e64 v207, s0, 0, v193, s0
	v_add_co_u32 v212, s0, 0x1040, v192
	s_delay_alu instid0(VALU_DEP_1)
	v_add_co_ci_u32_e64 v213, s0, 0, v193, s0
	v_fma_f64 v[78:79], v[38:39], v[100:101], -v[78:79]
	ds_load_2addr_b64 v[36:39], v205 offset1:81
	ds_load_2addr_b64 v[40:43], v205 offset0:162 offset1:243
	v_fma_f64 v[90:91], v[62:63], v[96:97], v[90:91]
	v_fma_f64 v[96:97], v[58:59], v[100:101], v[98:99]
	v_add_f64 v[100:101], v[144:145], v[102:103]
	v_add_f64 v[98:99], v[142:143], v[197:198]
	v_fma_f64 v[32:33], v[32:33], v[120:121], -v[82:83]
	v_fma_f64 v[52:53], v[52:53], v[120:121], v[122:123]
	v_add_f64 v[82:83], v[147:148], v[226:227]
	ds_load_2addr_b64 v[44:47], v171 offset0:68 offset1:149
	ds_load_2addr_b64 v[56:59], v175 offset0:102 offset1:183
	v_fma_f64 v[28:29], v[28:29], v[108:109], -v[86:87]
	v_fma_f64 v[64:65], v[64:65], v[108:109], v[110:111]
	v_fma_f64 v[34:35], v[34:35], v[116:117], -v[157:158]
	v_fma_f64 v[54:55], v[54:55], v[116:117], v[118:119]
	v_fma_f64 v[30:31], v[30:31], v[112:113], -v[159:160]
	v_fma_f64 v[66:67], v[66:67], v[112:113], v[114:115]
	v_add_f64 v[110:111], v[88:89], v[84:85]
	v_add_f64 v[86:87], v[214:215], v[94:95]
	v_add_f64 v[108:109], v[76:77], v[80:81]
	v_fma_f64 v[22:23], v[22:23], v[136:137], -v[210:211]
	v_fma_f64 v[24:25], v[24:25], v[124:125], -v[92:93]
	v_fma_f64 v[48:49], v[48:49], v[124:125], v[126:127]
	v_add_f64 v[92:93], v[140:141], v[72:73]
	v_add_f64 v[112:113], v[162:163], v[208:209]
	v_fma_f64 v[20:21], v[20:21], v[132:133], -v[106:107]
	v_fma_f64 v[68:69], v[68:69], v[132:133], v[134:135]
	v_fma_f64 v[26:27], v[26:27], v[128:129], -v[195:196]
	v_fma_f64 v[50:51], v[50:51], v[128:129], v[130:131]
	v_add_f64 v[106:107], v[155:156], v[153:154]
	v_fma_f64 v[70:71], v[70:71], v[136:137], v[138:139]
	v_add_f64 v[118:119], v[74:75], v[104:105]
	s_waitcnt lgkmcnt(3)
	v_add_f64 v[122:123], v[36:37], v[140:141]
	v_add_f64 v[126:127], v[16:17], v[144:145]
	;; [unrolled: 1-line block ×5, first 2 shown]
	ds_load_2addr_b64 v[60:63], v180 offset0:136 offset1:217
	v_add_f64 v[116:117], v[8:9], v[147:148]
	s_waitcnt lgkmcnt(3)
	v_add_f64 v[132:133], v[42:43], v[88:89]
	v_add_f64 v[146:147], v[147:148], -v[226:227]
	v_add_f64 v[140:141], v[140:141], -v[72:73]
	v_add_f64 v[138:139], v[90:91], v[96:97]
	v_fma_f64 v[16:17], v[100:101], -0.5, v[16:17]
	v_fma_f64 v[38:39], v[98:99], -0.5, v[38:39]
	v_add_f64 v[134:135], v[12:13], v[162:163]
	v_add_f64 v[120:121], v[10:11], v[214:215]
	v_fma_f64 v[8:9], v[82:83], -0.5, v[8:9]
	s_waitcnt lgkmcnt(1)
	v_add_f64 v[82:83], v[56:57], v[52:53]
	v_add_f64 v[195:196], v[32:33], v[28:29]
	;; [unrolled: 1-line block ×4, first 2 shown]
	v_add_f64 v[214:215], v[214:215], -v[94:95]
	v_add_f64 v[210:211], v[34:35], v[30:31]
	v_add_f64 v[230:231], v[54:55], v[66:67]
	v_fma_f64 v[42:43], v[110:111], -0.5, v[42:43]
	v_fma_f64 v[10:11], v[86:87], -0.5, v[10:11]
	v_add_f64 v[86:87], v[58:59], v[54:55]
	v_add_f64 v[142:143], v[142:143], -v[197:198]
	v_add_f64 v[130:131], v[40:41], v[76:77]
	v_fma_f64 v[40:41], v[108:109], -0.5, v[40:41]
	v_fma_f64 v[36:37], v[92:93], -0.5, v[36:37]
	;; [unrolled: 1-line block ×3, first 2 shown]
	v_add_f64 v[92:93], v[24:25], v[20:21]
	v_add_f64 v[100:101], v[48:49], v[68:69]
	;; [unrolled: 1-line block ×4, first 2 shown]
	v_fma_f64 v[18:19], v[106:107], -0.5, v[18:19]
	v_add_f64 v[106:107], v[50:51], v[70:71]
	s_waitcnt lgkmcnt(0)
	v_add_f64 v[112:113], v[60:61], v[48:49]
	v_add_f64 v[108:109], v[0:1], v[24:25]
	v_add_f64 v[144:145], v[144:145], -v[102:103]
	v_add_f64 v[76:77], v[76:77], -v[80:81]
	;; [unrolled: 1-line block ×3, first 2 shown]
	v_fma_f64 v[14:15], v[114:115], -0.5, v[14:15]
	v_add_f64 v[114:115], v[62:63], v[50:51]
	v_add_f64 v[88:89], v[88:89], -v[84:85]
	v_add_f64 v[157:158], v[44:45], v[74:75]
	v_add_f64 v[161:162], v[162:163], -v[208:209]
	v_add_f64 v[74:75], v[74:75], -v[104:105]
	v_fma_f64 v[44:45], v[118:119], -0.5, v[44:45]
	v_add_f64 v[159:160], v[46:47], v[90:91]
	v_add_f64 v[163:164], v[164:165], -v[78:79]
	v_add_f64 v[90:91], v[90:91], -v[96:97]
	v_fma_f64 v[46:47], v[138:139], -0.5, v[46:47]
	;; [unrolled: 4-line block ×3, first 2 shown]
	v_fma_f64 v[56:57], v[228:229], -0.5, v[56:57]
	v_add_f64 v[218:219], v[6:7], v[34:35]
	v_add_f64 v[34:35], v[34:35], -v[30:31]
	v_add_f64 v[54:55], v[54:55], -v[66:67]
	v_fma_f64 v[6:7], v[210:211], -0.5, v[6:7]
	v_fma_f64 v[58:59], v[230:231], -0.5, v[58:59]
	v_add_f64 v[24:25], v[24:25], -v[20:21]
	v_add_f64 v[48:49], v[48:49], -v[68:69]
	v_add_f64 v[26:27], v[26:27], -v[22:23]
	v_add_f64 v[50:51], v[50:51], -v[70:71]
	v_add_f64 v[72:73], v[122:123], v[72:73]
	v_add_f64 v[64:65], v[82:83], v[64:65]
	v_fma_f64 v[0:1], v[92:93], -0.5, v[0:1]
	v_fma_f64 v[60:61], v[100:101], -0.5, v[60:61]
	;; [unrolled: 1-line block ×3, first 2 shown]
	v_add_f64 v[92:93], v[116:117], v[226:227]
	v_add_f64 v[22:23], v[110:111], v[22:23]
	v_fma_f64 v[62:63], v[106:107], -0.5, v[62:63]
	v_fma_f64 v[82:83], v[140:141], s[4:5], v[8:9]
	v_fma_f64 v[110:111], v[146:147], s[10:11], v[36:37]
	v_add_f64 v[68:69], v[112:113], v[68:69]
	v_fma_f64 v[8:9], v[140:141], s[10:11], v[8:9]
	v_fma_f64 v[112:113], v[146:147], s[4:5], v[36:37]
	v_add_f64 v[94:95], v[120:121], v[94:95]
	v_add_f64 v[106:107], v[124:125], v[197:198]
	;; [unrolled: 1-line block ×4, first 2 shown]
	v_fma_f64 v[86:87], v[142:143], s[4:5], v[10:11]
	v_fma_f64 v[114:115], v[214:215], s[10:11], v[38:39]
	;; [unrolled: 1-line block ×4, first 2 shown]
	v_add_f64 v[98:99], v[126:127], v[102:103]
	v_add_f64 v[20:21], v[108:109], v[20:21]
	;; [unrolled: 1-line block ×3, first 2 shown]
	v_fma_f64 v[108:109], v[76:77], s[4:5], v[16:17]
	v_fma_f64 v[126:127], v[144:145], s[10:11], v[40:41]
	v_add_f64 v[100:101], v[128:129], v[153:154]
	v_fma_f64 v[16:17], v[76:77], s[10:11], v[16:17]
	v_fma_f64 v[128:129], v[144:145], s[4:5], v[40:41]
	v_add_f64 v[84:85], v[132:133], v[84:85]
	v_fma_f64 v[76:77], v[88:89], s[4:5], v[18:19]
	v_fma_f64 v[130:131], v[155:156], s[10:11], v[42:43]
	;; [unrolled: 1-line block ×4, first 2 shown]
	v_add_f64 v[102:103], v[134:135], v[208:209]
	v_add_f64 v[104:105], v[157:158], v[104:105]
	v_fma_f64 v[88:89], v[74:75], s[4:5], v[12:13]
	v_fma_f64 v[134:135], v[161:162], s[10:11], v[44:45]
	v_add_f64 v[78:79], v[136:137], v[78:79]
	v_fma_f64 v[12:13], v[74:75], s[10:11], v[12:13]
	v_fma_f64 v[136:137], v[161:162], s[4:5], v[44:45]
	;; [unrolled: 3-line block ×3, first 2 shown]
	v_fma_f64 v[14:15], v[90:91], s[10:11], v[14:15]
	v_fma_f64 v[140:141], v[163:164], s[4:5], v[46:47]
	v_add_f64 v[28:29], v[216:217], v[28:29]
	v_fma_f64 v[90:91], v[52:53], s[4:5], v[4:5]
	v_fma_f64 v[142:143], v[32:33], s[10:11], v[56:57]
	;; [unrolled: 1-line block ×4, first 2 shown]
	v_add_f64 v[30:31], v[218:219], v[30:31]
	v_fma_f64 v[52:53], v[54:55], s[4:5], v[6:7]
	v_fma_f64 v[144:145], v[34:35], s[10:11], v[58:59]
	;; [unrolled: 1-line block ×12, first 2 shown]
	s_barrier
	buffer_gl0_inv
	ds_store_2addr_b64 v205, v[92:93], v[82:83] offset1:90
	ds_store_b64 v205, v[8:9] offset:1440
	ds_store_2addr_b64 v199, v[94:95], v[86:87] offset1:90
	ds_store_b64 v199, v[10:11] offset:1440
	;; [unrolled: 2-line block ×9, first 2 shown]
	ds_store_2addr_b64 v238, v[22:23], v[48:49] offset0:112 offset1:202
	ds_store_b64 v240, v[2:3] offset:18720
	s_waitcnt lgkmcnt(0)
	s_barrier
	buffer_gl0_inv
	ds_load_2addr_b64 v[0:3], v205 offset1:81
	ds_load_2addr_b64 v[120:123], v178 offset0:42 offset1:123
	ds_load_2addr_b64 v[116:119], v179 offset0:84 offset1:165
	;; [unrolled: 1-line block ×14, first 2 shown]
	s_waitcnt lgkmcnt(0)
	s_barrier
	buffer_gl0_inv
	ds_store_2addr_b64 v205, v[72:73], v[110:111] offset1:90
	ds_store_b64 v205, v[112:113] offset:1440
	ds_store_2addr_b64 v199, v[106:107], v[114:115] offset1:90
	ds_store_b64 v199, v[124:125] offset:1440
	;; [unrolled: 2-line block ×9, first 2 shown]
	ds_store_2addr_b64 v238, v[70:71], v[153:154] offset0:112 offset1:202
	ds_store_b64 v240, v[62:63] offset:18720
	v_add_co_u32 v56, s0, s8, v220
	s_delay_alu instid0(VALU_DEP_1) | instskip(SKIP_4) | instid1(VALU_DEP_1)
	v_add_co_ci_u32_e64 v57, s0, s9, v221, s0
	v_add_co_u32 v52, s0, 0x1000, v190
	v_dual_mov_b32 v69, v203 :: v_dual_add_nc_u32 v68, 0x6c, v202
	v_add_co_ci_u32_e64 v53, s0, 0, v191, s0
	v_add_co_u32 v60, s0, 0x1000, v56
	v_add_co_ci_u32_e64 v61, s0, 0, v57, s0
	v_add_co_u32 v54, s0, 0x1040, v190
	v_lshlrev_b64 v[68:69], 4, v[68:69]
	v_add_co_ci_u32_e64 v55, s0, 0, v191, s0
	v_add_co_u32 v62, s0, 0x1040, v56
	v_add_nc_u32_e32 v202, 0x10e, v202
	v_add_co_ci_u32_e64 v63, s0, 0, v57, s0
	v_mul_u32_u24_e32 v72, 0x795d, v150
	v_add_co_u32 v75, s0, s8, v68
	v_mul_u32_u24_e32 v73, 0x795d, v149
	v_lshlrev_b64 v[70:71], 4, v[202:203]
	v_add_co_ci_u32_e64 v78, s0, s9, v69, s0
	v_mul_u32_u24_e32 v74, 0x795d, v152
	v_lshrrev_b32_e32 v195, 23, v72
	v_mul_u32_u24_e32 v76, 0x795d, v151
	v_add_co_u32 v68, s0, 0x1000, v75
	s_waitcnt lgkmcnt(0)
	s_barrier
	buffer_gl0_inv
	s_clause 0x3
	global_load_b128 v[162:165], v[222:223], off offset:64
	global_load_b128 v[154:157], v[224:225], off offset:16
	;; [unrolled: 1-line block ×4, first 2 shown]
	v_lshrrev_b32_e32 v72, 23, v73
	v_add_co_ci_u32_e64 v69, s0, 0, v78, s0
	v_add_co_u32 v79, s0, s8, v70
	v_lshrrev_b32_e32 v70, 23, v74
	v_mul_lo_u16 v73, 0x10e, v195
	v_add_co_ci_u32_e64 v81, s0, s9, v71, s0
	v_lshrrev_b32_e32 v71, 23, v76
	v_mul_lo_u16 v72, 0x10e, v72
	v_add_co_u32 v76, s0, 0x1000, v79
	v_mul_lo_u16 v70, 0x10e, v70
	v_sub_nc_u16 v74, v186, v73
	v_add_co_ci_u32_e64 v77, s0, 0, v81, s0
	v_mul_lo_u16 v71, 0x10e, v71
	v_sub_nc_u16 v80, v187, v72
	v_add_co_u32 v72, s0, 0x1040, v75
	s_delay_alu instid0(VALU_DEP_1)
	v_add_co_ci_u32_e64 v73, s0, 0, v78, s0
	v_sub_nc_u16 v78, v188, v70
	v_and_b32_e32 v197, 0xffff, v74
	v_sub_nc_u16 v82, v189, v71
	v_and_b32_e32 v198, 0xffff, v80
	v_add_co_u32 v80, s0, 0x1040, v79
	v_and_b32_e32 v199, 0xffff, v78
	v_lshlrev_b32_e32 v84, 5, v197
	v_and_b32_e32 v196, 0xffff, v82
	v_lshlrev_b32_e32 v85, 5, v198
	v_add_co_ci_u32_e64 v81, s0, 0, v81, s0
	v_lshlrev_b32_e32 v86, 5, v199
	v_add_co_u32 v88, s0, s8, v84
	v_lshlrev_b32_e32 v87, 5, v196
	v_add_co_ci_u32_e64 v89, null, s9, 0, s0
	v_add_co_u32 v90, s0, s8, v85
	s_delay_alu instid0(VALU_DEP_1) | instskip(SKIP_1) | instid1(VALU_DEP_1)
	v_add_co_ci_u32_e64 v91, null, s9, 0, s0
	v_add_co_u32 v102, s0, s8, v86
	v_add_co_ci_u32_e64 v103, null, s9, 0, s0
	v_add_co_u32 v106, s0, s8, v87
	s_delay_alu instid0(VALU_DEP_1) | instskip(SKIP_1) | instid1(VALU_DEP_1)
	v_add_co_ci_u32_e64 v107, null, s9, 0, s0
	v_add_co_u32 v84, s0, 0x1000, v88
	v_add_co_ci_u32_e64 v85, s0, 0, v89, s0
	v_add_co_u32 v88, s0, 0x1040, v88
	s_delay_alu instid0(VALU_DEP_1)
	v_add_co_ci_u32_e64 v89, s0, 0, v89, s0
	v_add_co_u32 v92, s0, 0x1000, v90
	s_clause 0x7
	global_load_b128 v[56:59], v[52:53], off offset:64
	global_load_b128 v[52:55], v[54:55], off offset:16
	;; [unrolled: 1-line block ×8, first 2 shown]
	v_add_co_ci_u32_e64 v93, s0, 0, v91, s0
	v_add_co_u32 v96, s0, 0x1040, v90
	s_delay_alu instid0(VALU_DEP_1) | instskip(SKIP_1) | instid1(VALU_DEP_1)
	v_add_co_ci_u32_e64 v97, s0, 0, v91, s0
	v_add_co_u32 v100, s0, 0x1000, v102
	v_add_co_ci_u32_e64 v101, s0, 0, v103, s0
	v_add_co_u32 v104, s0, 0x1000, v106
	s_delay_alu instid0(VALU_DEP_1)
	v_add_co_ci_u32_e64 v105, s0, 0, v107, s0
	v_add_co_u32 v108, s0, 0x1040, v102
	s_clause 0x3
	global_load_b128 v[84:87], v[84:85], off offset:64
	global_load_b128 v[88:91], v[88:89], off offset:16
	;; [unrolled: 1-line block ×4, first 2 shown]
	v_add_co_ci_u32_e64 v109, s0, 0, v103, s0
	v_add_co_u32 v112, s0, 0x1040, v106
	s_delay_alu instid0(VALU_DEP_1)
	v_add_co_ci_u32_e64 v113, s0, 0, v107, s0
	s_clause 0x3
	global_load_b128 v[100:103], v[100:101], off offset:64
	global_load_b128 v[104:107], v[104:105], off offset:64
	global_load_b128 v[108:111], v[108:109], off offset:16
	global_load_b128 v[112:115], v[112:113], off offset:16
	ds_load_2addr_b64 v[206:209], v178 offset0:42 offset1:123
	ds_load_2addr_b64 v[210:213], v179 offset0:84 offset1:165
	;; [unrolled: 1-line block ×5, first 2 shown]
	v_cmp_lt_u32_e64 s0, 26, v204
	v_lshl_add_u32 v202, v204, 3, 0
	s_waitcnt vmcnt(19) lgkmcnt(4)
	v_mul_f64 v[214:215], v[206:207], v[164:165]
	v_mul_f64 v[164:165], v[120:121], v[164:165]
	s_waitcnt vmcnt(17)
	v_mul_f64 v[216:217], v[208:209], v[160:161]
	v_mul_f64 v[218:219], v[122:123], v[160:161]
	s_waitcnt lgkmcnt(3)
	v_mul_f64 v[220:221], v[210:211], v[156:157]
	v_mul_f64 v[222:223], v[116:117], v[156:157]
	s_waitcnt vmcnt(16)
	v_mul_f64 v[224:225], v[212:213], v[142:143]
	v_mul_f64 v[226:227], v[118:119], v[142:143]
	ds_load_2addr_b64 v[136:139], v174 offset0:152 offset1:233
	ds_load_2addr_b64 v[142:145], v176 offset0:16 offset1:97
	ds_load_2addr_b64 v[150:153], v177 offset0:58 offset1:139
	ds_load_2addr_b64 v[146:149], v181 offset0:50 offset1:131
	v_fma_f64 v[156:157], v[120:121], v[162:163], -v[214:215]
	v_fma_f64 v[120:121], v[206:207], v[162:163], v[164:165]
	ds_load_2addr_b64 v[160:163], v182 offset0:92 offset1:173
	v_fma_f64 v[164:165], v[122:123], v[158:159], -v[216:217]
	v_fma_f64 v[122:123], v[208:209], v[158:159], v[218:219]
	v_fma_f64 v[158:159], v[116:117], v[154:155], -v[220:221]
	v_fma_f64 v[116:117], v[210:211], v[154:155], v[222:223]
	v_fma_f64 v[154:155], v[118:119], v[140:141], -v[224:225]
	v_fma_f64 v[118:119], v[212:213], v[140:141], v[226:227]
	s_waitcnt vmcnt(15) lgkmcnt(7)
	v_mul_f64 v[228:229], v[124:125], v[58:59]
	s_waitcnt vmcnt(14) lgkmcnt(6)
	v_mul_f64 v[232:233], v[128:129], v[54:55]
	s_waitcnt vmcnt(13)
	v_mul_f64 v[230:231], v[126:127], v[66:67]
	s_waitcnt vmcnt(12)
	v_mul_f64 v[234:235], v[130:131], v[62:63]
	s_waitcnt vmcnt(9) lgkmcnt(5)
	v_mul_f64 v[214:215], v[134:135], v[78:79]
	s_waitcnt lgkmcnt(4)
	v_mul_f64 v[208:209], v[136:137], v[74:75]
	v_mul_f64 v[206:207], v[132:133], v[70:71]
	s_waitcnt vmcnt(8)
	v_mul_f64 v[216:217], v[138:139], v[82:83]
	v_mul_f64 v[58:59], v[48:49], v[58:59]
	;; [unrolled: 1-line block ×4, first 2 shown]
	s_waitcnt vmcnt(7) lgkmcnt(3)
	v_mul_f64 v[218:219], v[142:143], v[86:87]
	s_waitcnt vmcnt(6) lgkmcnt(2)
	v_mul_f64 v[210:211], v[150:151], v[90:91]
	s_waitcnt vmcnt(5)
	v_mul_f64 v[236:237], v[144:145], v[94:95]
	s_waitcnt vmcnt(4)
	v_mul_f64 v[220:221], v[152:153], v[98:99]
	v_mul_f64 v[94:95], v[34:35], v[94:95]
	;; [unrolled: 1-line block ×4, first 2 shown]
	s_waitcnt vmcnt(3) lgkmcnt(1)
	v_mul_f64 v[222:223], v[146:147], v[102:103]
	s_waitcnt vmcnt(2)
	v_mul_f64 v[224:225], v[148:149], v[106:107]
	s_waitcnt vmcnt(1) lgkmcnt(0)
	v_mul_f64 v[140:141], v[160:161], v[110:111]
	s_waitcnt vmcnt(0)
	v_mul_f64 v[212:213], v[162:163], v[114:115]
	v_mul_f64 v[102:103], v[24:25], v[102:103]
	;; [unrolled: 1-line block ×5, first 2 shown]
	v_fma_f64 v[48:49], v[48:49], v[56:57], -v[228:229]
	v_fma_f64 v[44:45], v[44:45], v[52:53], -v[232:233]
	;; [unrolled: 1-line block ×3, first 2 shown]
	v_mul_f64 v[50:51], v[50:51], v[66:67]
	v_fma_f64 v[66:67], v[46:47], v[60:61], -v[234:235]
	v_mul_f64 v[46:47], v[46:47], v[62:63]
	v_mul_f64 v[62:63], v[40:41], v[70:71]
	v_fma_f64 v[70:71], v[42:43], v[76:77], -v[214:215]
	v_mul_f64 v[42:43], v[42:43], v[78:79]
	v_fma_f64 v[78:79], v[36:37], v[72:73], -v[208:209]
	v_mul_f64 v[36:37], v[38:39], v[82:83]
	v_mul_f64 v[82:83], v[32:33], v[86:87]
	v_fma_f64 v[40:41], v[40:41], v[68:69], -v[206:207]
	v_fma_f64 v[206:207], v[38:39], v[80:81], -v[216:217]
	v_fma_f64 v[56:57], v[124:125], v[56:57], v[58:59]
	v_fma_f64 v[52:53], v[128:129], v[52:53], v[54:55]
	;; [unrolled: 1-line block ×3, first 2 shown]
	v_lshl_add_u32 v234, v198, 3, 0
	v_lshl_add_u32 v235, v199, 3, 0
	v_fma_f64 v[86:87], v[32:33], v[84:85], -v[218:219]
	v_fma_f64 v[210:211], v[28:29], v[88:89], -v[210:211]
	;; [unrolled: 1-line block ×4, first 2 shown]
	v_lshl_add_u32 v236, v196, 3, 0
	v_add_nc_u32_e32 v233, 0x400, v205
	v_fma_f64 v[72:73], v[152:153], v[96:97], v[98:99]
	v_fma_f64 v[216:217], v[24:25], v[100:101], -v[222:223]
	v_fma_f64 v[218:219], v[26:27], v[104:105], -v[224:225]
	;; [unrolled: 1-line block ×4, first 2 shown]
	v_fma_f64 v[74:75], v[146:147], v[100:101], v[102:103]
	v_cndmask_b32_e64 v20, 0, 0x1950, s0
	v_lshlrev_b32_e32 v21, 3, v194
	v_add_nc_u32_e32 v230, 0x1800, v202
	v_add_nc_u32_e32 v231, 0x2000, v202
	;; [unrolled: 1-line block ×3, first 2 shown]
	s_delay_alu instid0(VALU_DEP_4)
	v_add3_u32 v232, 0, v20, v21
	v_mul_u32_u24_e32 v20, 0x1950, v195
	v_lshlrev_b32_e32 v21, 3, v197
	v_add_f64 v[128:129], v[6:7], v[226:227]
	v_fma_f64 v[50:51], v[126:127], v[64:65], v[50:51]
	v_fma_f64 v[64:65], v[150:151], v[88:89], v[90:91]
	;; [unrolled: 1-line block ×11, first 2 shown]
	v_add_f64 v[84:85], v[156:157], v[158:159]
	v_add_f64 v[88:89], v[164:165], v[154:155]
	;; [unrolled: 1-line block ×10, first 2 shown]
	v_add3_u32 v237, 0, v20, v21
	ds_load_2addr_b64 v[20:23], v205 offset1:81
	ds_load_2addr_b64 v[24:27], v205 offset0:162 offset1:243
	ds_load_2addr_b64 v[28:31], v171 offset0:68 offset1:149
	;; [unrolled: 1-line block ×4, first 2 shown]
	v_add_f64 v[108:109], v[120:121], v[116:117]
	v_add_f64 v[102:103], v[216:217], v[140:141]
	;; [unrolled: 1-line block ×5, first 2 shown]
	v_add_f64 v[198:199], v[226:227], -v[66:67]
	v_add_f64 v[126:127], v[4:5], v[48:49]
	v_add_f64 v[130:131], v[8:9], v[40:41]
	;; [unrolled: 1-line block ×6, first 2 shown]
	v_add_f64 v[156:157], v[156:157], -v[158:159]
	v_add_f64 v[146:147], v[18:19], v[218:219]
	v_add_f64 v[164:165], v[164:165], -v[154:155]
	v_add_f64 v[48:49], v[48:49], -v[44:45]
	v_add_f64 v[124:125], v[50:51], v[46:47]
	v_add_f64 v[138:139], v[54:55], v[58:59]
	s_waitcnt lgkmcnt(3)
	v_add_f64 v[148:149], v[24:25], v[56:57]
	v_add_f64 v[150:151], v[20:21], v[120:121]
	;; [unrolled: 1-line block ×9, first 2 shown]
	v_add_f64 v[120:121], v[120:121], -v[116:117]
	v_add_f64 v[122:123], v[122:123], -v[118:119]
	v_fma_f64 v[0:1], v[84:85], -0.5, v[0:1]
	v_fma_f64 v[2:3], v[88:89], -0.5, v[2:3]
	s_waitcnt lgkmcnt(2)
	v_add_f64 v[196:197], v[28:29], v[54:55]
	v_add_f64 v[56:57], v[56:57], -v[52:53]
	v_fma_f64 v[4:5], v[90:91], -0.5, v[4:5]
	v_add_f64 v[50:51], v[50:51], -v[46:47]
	v_fma_f64 v[6:7], v[92:93], -0.5, v[6:7]
	v_add_f64 v[220:221], v[30:31], v[42:43]
	v_add_f64 v[106:107], v[106:107], v[158:159]
	;; [unrolled: 1-line block ×3, first 2 shown]
	v_add_f64 v[54:55], v[54:55], -v[58:59]
	v_add_f64 v[42:43], v[42:43], -v[60:61]
	v_fma_f64 v[8:9], v[94:95], -0.5, v[8:9]
	v_fma_f64 v[10:11], v[96:97], -0.5, v[10:11]
	s_waitcnt lgkmcnt(1)
	v_add_f64 v[222:223], v[32:33], v[62:63]
	v_add_f64 v[62:63], v[62:63], -v[64:65]
	v_fma_f64 v[12:13], v[98:99], -0.5, v[12:13]
	v_add_f64 v[224:225], v[34:35], v[68:69]
	v_add_f64 v[68:69], v[68:69], -v[72:73]
	v_fma_f64 v[14:15], v[100:101], -0.5, v[14:15]
	s_waitcnt lgkmcnt(0)
	v_add_f64 v[158:159], v[36:37], v[74:75]
	v_add_f64 v[74:75], v[74:75], -v[80:81]
	v_fma_f64 v[16:17], v[102:103], -0.5, v[16:17]
	v_add_f64 v[154:155], v[38:39], v[76:77]
	v_add_f64 v[76:77], v[76:77], -v[82:83]
	v_fma_f64 v[18:19], v[104:105], -0.5, v[18:19]
	v_fma_f64 v[20:21], v[108:109], -0.5, v[20:21]
	;; [unrolled: 1-line block ×4, first 2 shown]
	v_add_f64 v[40:41], v[40:41], -v[78:79]
	v_add_f64 v[70:71], v[70:71], -v[206:207]
	;; [unrolled: 1-line block ×6, first 2 shown]
	v_fma_f64 v[26:27], v[124:125], -0.5, v[26:27]
	v_fma_f64 v[28:29], v[138:139], -0.5, v[28:29]
	;; [unrolled: 1-line block ×5, first 2 shown]
	v_add_f64 v[96:97], v[148:149], v[52:53]
	v_fma_f64 v[36:37], v[226:227], -0.5, v[36:37]
	v_fma_f64 v[38:39], v[228:229], -0.5, v[38:39]
	v_add_f64 v[102:103], v[160:161], v[46:47]
	v_fma_f64 v[46:47], v[120:121], s[10:11], v[0:1]
	v_fma_f64 v[52:53], v[122:123], s[10:11], v[2:3]
	v_add_f64 v[44:45], v[126:127], v[44:45]
	v_fma_f64 v[0:1], v[120:121], s[4:5], v[0:1]
	v_add_f64 v[104:105], v[196:197], v[58:59]
	v_fma_f64 v[2:3], v[122:123], s[4:5], v[2:3]
	v_fma_f64 v[58:59], v[56:57], s[4:5], v[4:5]
	;; [unrolled: 1-line block ×3, first 2 shown]
	v_add_f64 v[66:67], v[128:129], v[66:67]
	v_fma_f64 v[56:57], v[50:51], s[4:5], v[6:7]
	v_fma_f64 v[6:7], v[50:51], s[10:11], v[6:7]
	v_add_f64 v[78:79], v[130:131], v[78:79]
	v_add_f64 v[84:85], v[132:133], v[206:207]
	s_barrier
	buffer_gl0_inv
	ds_store_2addr_b64 v205, v[106:107], v[112:113] offset1:81
	v_fma_f64 v[50:51], v[54:55], s[4:5], v[8:9]
	v_fma_f64 v[106:107], v[42:43], s[4:5], v[10:11]
	;; [unrolled: 1-line block ×4, first 2 shown]
	v_add_f64 v[88:89], v[134:135], v[210:211]
	v_fma_f64 v[42:43], v[62:63], s[4:5], v[12:13]
	v_fma_f64 v[12:13], v[62:63], s[10:11], v[12:13]
	v_add_f64 v[90:91], v[136:137], v[214:215]
	v_fma_f64 v[54:55], v[68:69], s[4:5], v[14:15]
	v_fma_f64 v[14:15], v[68:69], s[10:11], v[14:15]
	;; [unrolled: 3-line block ×4, first 2 shown]
	v_fma_f64 v[74:75], v[156:157], s[10:11], v[20:21]
	v_add_f64 v[98:99], v[150:151], v[116:117]
	v_add_f64 v[100:101], v[152:153], v[118:119]
	v_fma_f64 v[76:77], v[156:157], s[4:5], v[20:21]
	v_fma_f64 v[108:109], v[164:165], s[4:5], v[22:23]
	;; [unrolled: 1-line block ×19, first 2 shown]
	ds_store_2addr_b64 v180, v[46:47], v[52:53] offset0:28 offset1:109
	ds_store_2addr_b64 v233, v[44:45], v[0:1] offset0:34 offset1:142
	;; [unrolled: 1-line block ×3, first 2 shown]
	ds_store_b64 v205, v[4:5] offset:5616
	ds_store_b64 v232, v[66:67]
	ds_store_b64 v232, v[56:57] offset:2160
	ds_store_b64 v232, v[6:7] offset:4320
	ds_store_2addr_b64 v230, v[78:79], v[84:85] offset0:96 offset1:177
	ds_store_2addr_b64 v231, v[50:51], v[106:107] offset0:110 offset1:191
	;; [unrolled: 1-line block ×3, first 2 shown]
	ds_store_b64 v237, v[88:89]
	ds_store_b64 v237, v[42:43] offset:2160
	ds_store_b64 v237, v[12:13] offset:4320
	ds_store_b64 v234, v[90:91] offset:12960
	ds_store_b64 v234, v[54:55] offset:15120
	ds_store_b64 v234, v[14:15] offset:17280
	ds_store_b64 v235, v[92:93] offset:12960
	ds_store_b64 v235, v[62:63] offset:15120
	ds_store_b64 v235, v[16:17] offset:17280
	ds_store_b64 v236, v[94:95] offset:12960
	ds_store_b64 v236, v[68:69] offset:15120
	ds_store_b64 v236, v[18:19] offset:17280
	s_waitcnt lgkmcnt(0)
	s_barrier
	buffer_gl0_inv
	ds_load_2addr_b64 v[16:19], v205 offset1:81
	ds_load_2addr_b64 v[56:59], v178 offset0:42 offset1:123
	ds_load_2addr_b64 v[52:55], v179 offset0:84 offset1:165
	;; [unrolled: 1-line block ×14, first 2 shown]
	v_add_f64 v[60:61], v[220:221], v[60:61]
	v_add_f64 v[64:65], v[222:223], v[64:65]
	v_add_f64 v[72:73], v[224:225], v[72:73]
	v_add_f64 v[80:81], v[158:159], v[80:81]
	v_add_f64 v[82:83], v[154:155], v[82:83]
	s_waitcnt lgkmcnt(0)
	s_barrier
	buffer_gl0_inv
	ds_store_2addr_b64 v233, v[96:97], v[74:75] offset0:34 offset1:142
	ds_store_2addr_b64 v205, v[98:99], v[100:101] offset1:81
	ds_store_2addr_b64 v180, v[76:77], v[108:109] offset0:28 offset1:109
	ds_store_2addr_b64 v171, v[110:111], v[112:113] offset0:95 offset1:176
	ds_store_b64 v205, v[114:115] offset:5616
	ds_store_b64 v232, v[102:103]
	ds_store_b64 v232, v[116:117] offset:2160
	ds_store_b64 v232, v[118:119] offset:4320
	ds_store_2addr_b64 v230, v[104:105], v[60:61] offset0:96 offset1:177
	ds_store_2addr_b64 v231, v[120:121], v[124:125] offset0:110 offset1:191
	;; [unrolled: 1-line block ×3, first 2 shown]
	ds_store_b64 v237, v[64:65]
	ds_store_b64 v237, v[126:127] offset:2160
	ds_store_b64 v237, v[86:87] offset:4320
	;; [unrolled: 1-line block ×11, first 2 shown]
	s_waitcnt lgkmcnt(0)
	s_barrier
	buffer_gl0_inv
	s_and_saveexec_b32 s0, vcc_lo
	s_cbranch_execz .LBB0_15
; %bb.14:
	v_add_co_u32 v60, vcc_lo, 0x3200, v192
	v_dual_mov_b32 v209, v203 :: v_dual_lshlrev_b32 v202, 1, v189
	v_add_co_ci_u32_e32 v61, vcc_lo, 0, v193, vcc_lo
	v_add_co_u32 v62, vcc_lo, 0x3000, v192
	v_add_co_ci_u32_e32 v63, vcc_lo, 0, v193, vcc_lo
	v_add_co_u32 v64, vcc_lo, 0x3000, v168
	v_lshlrev_b64 v[66:67], 4, v[202:203]
	v_add_co_ci_u32_e32 v65, vcc_lo, 0, v169, vcc_lo
	v_dual_mov_b32 v211, v203 :: v_dual_lshlrev_b32 v202, 1, v188
	s_clause 0x1
	global_load_b128 v[144:147], v[62:63], off offset:512
	global_load_b128 v[96:99], v[60:61], off offset:16
	v_add_co_u32 v60, vcc_lo, 0x3200, v168
	v_add_co_ci_u32_e32 v61, vcc_lo, 0, v169, vcc_lo
	v_add_co_u32 v68, vcc_lo, s8, v66
	v_add_co_ci_u32_e32 v69, vcc_lo, s9, v67, vcc_lo
	v_lshlrev_b64 v[62:63], 4, v[202:203]
	s_clause 0x1
	global_load_b128 v[148:151], v[64:65], off offset:512
	global_load_b128 v[100:103], v[60:61], off offset:16
	v_add_co_u32 v60, vcc_lo, 0x3000, v68
	v_dual_mov_b32 v213, v203 :: v_dual_lshlrev_b32 v202, 1, v187
	v_add_co_ci_u32_e32 v61, vcc_lo, 0, v69, vcc_lo
	v_add_co_u32 v72, vcc_lo, s8, v62
	v_add_co_ci_u32_e32 v73, vcc_lo, s9, v63, vcc_lo
	s_delay_alu instid0(VALU_DEP_4) | instskip(SKIP_1) | instid1(VALU_DEP_4)
	v_lshlrev_b64 v[62:63], 4, v[202:203]
	v_lshlrev_b32_e32 v202, 1, v186
	v_add_co_u32 v64, vcc_lo, 0x3000, v72
	s_delay_alu instid0(VALU_DEP_4) | instskip(NEXT) | instid1(VALU_DEP_3)
	v_add_co_ci_u32_e32 v65, vcc_lo, 0, v73, vcc_lo
	v_lshlrev_b64 v[66:67], 4, v[202:203]
	v_lshlrev_b32_e32 v202, 1, v185
	v_add_co_u32 v68, vcc_lo, 0x3200, v68
	v_add_co_ci_u32_e32 v69, vcc_lo, 0, v69, vcc_lo
	s_delay_alu instid0(VALU_DEP_3) | instskip(SKIP_3) | instid1(VALU_DEP_3)
	v_lshlrev_b64 v[70:71], 4, v[202:203]
	v_lshlrev_b32_e32 v202, 1, v184
	v_add_co_u32 v72, vcc_lo, 0x3200, v72
	v_add_co_ci_u32_e32 v73, vcc_lo, 0, v73, vcc_lo
	v_lshlrev_b64 v[74:75], 4, v[202:203]
	s_clause 0x3
	global_load_b128 v[104:107], v[60:61], off offset:512
	global_load_b128 v[92:95], v[68:69], off offset:16
	;; [unrolled: 1-line block ×4, first 2 shown]
	v_lshlrev_b32_e32 v202, 1, v183
	v_mul_lo_u32 v214, s2, v167
	v_mad_u64_u32 v[206:207], null, s2, v166, 0
	v_add_co_u32 v72, vcc_lo, s8, v74
	v_add_co_ci_u32_e32 v73, vcc_lo, s9, v75, vcc_lo
	v_add_co_u32 v74, vcc_lo, s8, v70
	v_add_co_ci_u32_e32 v75, vcc_lo, s9, v71, vcc_lo
	s_delay_alu instid0(VALU_DEP_4) | instskip(NEXT) | instid1(VALU_DEP_4)
	v_add_co_u32 v60, vcc_lo, 0x3000, v72
	v_add_co_ci_u32_e32 v61, vcc_lo, 0, v73, vcc_lo
	v_add_co_u32 v64, vcc_lo, 0x3000, v190
	v_add_co_ci_u32_e32 v65, vcc_lo, 0, v191, vcc_lo
	;; [unrolled: 2-line block ×4, first 2 shown]
	v_add_co_u32 v62, vcc_lo, s8, v62
	s_clause 0x2
	global_load_b128 v[76:79], v[60:61], off offset:512
	global_load_b128 v[152:155], v[64:65], off offset:512
	;; [unrolled: 1-line block ×3, first 2 shown]
	v_add_co_ci_u32_e32 v63, vcc_lo, s9, v63, vcc_lo
	v_add_co_u32 v60, vcc_lo, 0x3200, v62
	v_dual_mov_b32 v208, v203 :: v_dual_add_nc_u32 v215, 0x51, v204
	s_delay_alu instid0(VALU_DEP_3)
	v_add_co_ci_u32_e32 v61, vcc_lo, 0, v63, vcc_lo
	v_add_co_u32 v62, vcc_lo, 0x3000, v62
	v_add_co_ci_u32_e32 v63, vcc_lo, 0, v63, vcc_lo
	v_add_co_u32 v64, vcc_lo, s8, v66
	v_add_co_ci_u32_e32 v65, vcc_lo, s9, v67, vcc_lo
	s_clause 0x1
	global_load_b128 v[108:111], v[62:63], off offset:512
	global_load_b128 v[112:115], v[60:61], off offset:16
	v_add_co_u32 v60, vcc_lo, 0x3000, v64
	v_add_co_ci_u32_e32 v61, vcc_lo, 0, v65, vcc_lo
	v_add_co_u32 v62, vcc_lo, 0x3200, v64
	v_lshlrev_b64 v[66:67], 4, v[202:203]
	v_add_co_ci_u32_e32 v63, vcc_lo, 0, v65, vcc_lo
	v_add_co_u32 v64, vcc_lo, 0x3200, v74
	v_add_co_ci_u32_e32 v65, vcc_lo, 0, v75, vcc_lo
	s_clause 0x3
	global_load_b128 v[128:131], v[60:61], off offset:512
	global_load_b128 v[132:135], v[62:63], off offset:16
	;; [unrolled: 1-line block ×4, first 2 shown]
	v_add_co_u32 v64, vcc_lo, s8, v66
	v_add_co_ci_u32_e32 v65, vcc_lo, s9, v67, vcc_lo
	v_add_co_u32 v60, vcc_lo, 0x3200, v72
	v_add_co_ci_u32_e32 v61, vcc_lo, 0, v73, vcc_lo
	s_delay_alu instid0(VALU_DEP_4) | instskip(NEXT) | instid1(VALU_DEP_4)
	v_add_co_u32 v62, vcc_lo, 0x3000, v64
	v_add_co_ci_u32_e32 v63, vcc_lo, 0, v65, vcc_lo
	v_add_co_u32 v64, vcc_lo, 0x3200, v64
	v_add_co_ci_u32_e32 v65, vcc_lo, 0, v65, vcc_lo
	s_clause 0x2
	global_load_b128 v[116:119], v[60:61], off offset:16
	global_load_b128 v[136:139], v[62:63], off offset:512
	;; [unrolled: 1-line block ×3, first 2 shown]
	v_mul_lo_u32 v202, s3, v166
	ds_load_2addr_b64 v[196:199], v178 offset0:42 offset1:123
	ds_load_2addr_b64 v[192:195], v179 offset0:84 offset1:165
	;; [unrolled: 1-line block ×14, first 2 shown]
	ds_load_2addr_b64 v[80:83], v205 offset1:81
	v_mul_hi_u32 v205, 0x50e89cc3, v204
	v_dual_mov_b32 v212, v203 :: v_dual_add_nc_u32 v219, 0x195, v204
	v_mul_hi_u32 v221, 0x50e89cc3, v215
	v_add_nc_u32_e32 v216, 0xa2, v204
	v_add3_u32 v207, v207, v214, v202
	s_delay_alu instid0(VALU_DEP_4)
	v_mul_hi_u32 v214, 0x50e89cc3, v219
	v_add_nc_u32_e32 v218, 0x144, v204
	v_lshrrev_b32_e32 v202, 8, v205
	v_mul_hi_u32 v222, 0x50e89cc3, v216
	v_lshlrev_b64 v[205:206], 4, v[206:207]
	v_lshrrev_b32_e32 v207, 8, v221
	v_dual_mov_b32 v210, v203 :: v_dual_add_nc_u32 v217, 0xf3, v204
	v_mul_u32_u24_e32 v202, 0x32a, v202
	v_lshrrev_b32_e32 v240, 8, v214
	s_delay_alu instid0(VALU_DEP_4)
	v_mul_u32_u24_e32 v214, 0x32a, v207
	v_add_nc_u32_e32 v220, 0x1e6, v204
	v_mul_hi_u32 v224, 0x50e89cc3, v218
	v_lshrrev_b32_e32 v221, 8, v222
	v_sub_nc_u32_e32 v202, v204, v202
	v_sub_nc_u32_e32 v214, v215, v214
	v_lshlrev_b64 v[200:201], 4, v[200:201]
	v_add_nc_u32_e32 v246, 0x237, v204
	v_mul_hi_u32 v223, 0x50e89cc3, v217
	v_mul_hi_u32 v225, 0x50e89cc3, v220
	v_add_co_u32 v205, vcc_lo, s6, v205
	v_lshrrev_b32_e32 v228, 8, v224
	v_mul_u32_u24_e32 v222, 0x32a, v221
	v_add_co_ci_u32_e32 v206, vcc_lo, s7, v206, vcc_lo
	v_lshlrev_b32_e32 v215, 4, v202
	v_mad_u32_u24 v202, 0x97e, v207, v214
	v_mul_hi_u32 v226, 0x50e89cc3, v246
	v_add_co_u32 v200, vcc_lo, v205, v200
	v_lshrrev_b32_e32 v227, 8, v223
	v_lshrrev_b32_e32 v247, 8, v225
	v_mul_u32_u24_e32 v224, 0x32a, v228
	v_mul_u32_u24_e32 v225, 0x32a, v240
	v_sub_nc_u32_e32 v222, v216, v222
	v_add_co_ci_u32_e32 v201, vcc_lo, v206, v201, vcc_lo
	v_lshlrev_b64 v[205:206], 4, v[202:203]
	v_add_nc_u32_e32 v207, 0x32a, v202
	v_add_nc_u32_e32 v202, 0x654, v202
	v_lshrrev_b32_e32 v248, 8, v226
	v_mul_u32_u24_e32 v223, 0x32a, v227
	v_mul_u32_u24_e32 v226, 0x32a, v247
	v_sub_nc_u32_e32 v230, v218, v224
	v_sub_nc_u32_e32 v241, v219, v225
	v_lshlrev_b64 v[218:219], 4, v[202:203]
	v_mad_u32_u24 v202, 0x97e, v221, v222
	v_sub_nc_u32_e32 v229, v217, v223
	v_sub_nc_u32_e32 v250, v220, v226
	v_lshlrev_b64 v[216:217], 4, v[207:208]
	v_add_co_u32 v214, vcc_lo, v200, v215
	v_lshlrev_b64 v[220:221], 4, v[202:203]
	v_add_nc_u32_e32 v208, 0x32a, v202
	v_add_nc_u32_e32 v202, 0x654, v202
	v_add_co_ci_u32_e32 v215, vcc_lo, 0, v201, vcc_lo
	v_add_co_u32 v205, vcc_lo, v200, v205
	s_delay_alu instid0(VALU_DEP_3) | instskip(SKIP_4) | instid1(VALU_DEP_4)
	v_lshlrev_b64 v[222:223], 4, v[202:203]
	v_mad_u32_u24 v202, 0x97e, v227, v229
	v_lshlrev_b64 v[207:208], 4, v[208:209]
	v_add_co_ci_u32_e32 v206, vcc_lo, v201, v206, vcc_lo
	v_add_co_u32 v216, vcc_lo, v200, v216
	v_lshlrev_b64 v[224:225], 4, v[202:203]
	v_add_nc_u32_e32 v209, 0x32a, v202
	v_add_nc_u32_e32 v202, 0x654, v202
	v_add_co_ci_u32_e32 v217, vcc_lo, v201, v217, vcc_lo
	v_add_co_u32 v218, vcc_lo, v200, v218
	s_delay_alu instid0(VALU_DEP_3) | instskip(SKIP_4) | instid1(VALU_DEP_4)
	v_lshlrev_b64 v[226:227], 4, v[202:203]
	v_mad_u32_u24 v202, 0x97e, v228, v230
	v_lshlrev_b64 v[228:229], 4, v[209:210]
	v_add_co_ci_u32_e32 v219, vcc_lo, v201, v219, vcc_lo
	v_add_co_u32 v220, vcc_lo, v200, v220
	v_lshlrev_b64 v[234:235], 4, v[202:203]
	v_add_nc_u32_e32 v210, 0x32a, v202
	v_add_nc_u32_e32 v202, 0x654, v202
	v_add_co_ci_u32_e32 v221, vcc_lo, v201, v221, vcc_lo
	v_add_co_u32 v207, vcc_lo, v200, v207
	s_delay_alu instid0(VALU_DEP_3)
	v_lshlrev_b64 v[238:239], 4, v[202:203]
	v_mad_u32_u24 v202, 0x97e, v240, v241
	v_add_co_ci_u32_e32 v208, vcc_lo, v201, v208, vcc_lo
	v_add_co_u32 v222, vcc_lo, v200, v222
	v_add_co_ci_u32_e32 v223, vcc_lo, v201, v223, vcc_lo
	v_add_co_u32 v224, vcc_lo, v200, v224
	;; [unrolled: 2-line block ×4, first 2 shown]
	v_lshlrev_b64 v[209:210], 4, v[210:211]
	v_add_co_ci_u32_e32 v227, vcc_lo, v201, v227, vcc_lo
	v_add_co_u32 v234, vcc_lo, v200, v234
	v_add_co_ci_u32_e32 v235, vcc_lo, v201, v235, vcc_lo
	s_delay_alu instid0(VALU_DEP_4)
	v_add_co_u32 v209, vcc_lo, v200, v209
	v_add_co_ci_u32_e32 v210, vcc_lo, v201, v210, vcc_lo
	v_lshlrev_b64 v[242:243], 4, v[202:203]
	v_add_nc_u32_e32 v211, 0x32a, v202
	v_add_nc_u32_e32 v202, 0x654, v202
	v_mul_u32_u24_e32 v249, 0x32a, v248
	s_waitcnt vmcnt(19) lgkmcnt(14)
	v_mul_f64 v[230:231], v[146:147], v[198:199]
	v_mul_f64 v[198:199], v[144:145], v[198:199]
	s_waitcnt vmcnt(18) lgkmcnt(13)
	v_mul_f64 v[236:237], v[98:99], v[194:195]
	v_mul_f64 v[194:195], v[96:97], v[194:195]
	s_waitcnt vmcnt(17)
	v_mul_f64 v[232:233], v[150:151], v[196:197]
	v_mul_f64 v[196:197], v[148:149], v[196:197]
	s_waitcnt vmcnt(16)
	v_mul_f64 v[240:241], v[102:103], v[192:193]
	v_mul_f64 v[192:193], v[100:101], v[192:193]
	v_fma_f64 v[144:145], v[58:59], v[144:145], -v[230:231]
	v_fma_f64 v[58:59], v[58:59], v[146:147], v[198:199]
	s_waitcnt vmcnt(15) lgkmcnt(12)
	v_mul_f64 v[198:199], v[106:107], v[162:163]
	v_mul_f64 v[162:163], v[104:105], v[162:163]
	v_fma_f64 v[96:97], v[54:55], v[96:97], -v[236:237]
	v_fma_f64 v[54:55], v[54:55], v[98:99], v[194:195]
	s_waitcnt vmcnt(14) lgkmcnt(11)
	v_mul_f64 v[98:99], v[92:93], v[190:191]
	s_waitcnt vmcnt(12)
	v_mul_f64 v[194:195], v[86:87], v[188:189]
	v_mul_f64 v[188:189], v[84:85], v[188:189]
	v_fma_f64 v[148:149], v[56:57], v[148:149], -v[232:233]
	v_fma_f64 v[56:57], v[56:57], v[150:151], v[196:197]
	v_mul_f64 v[232:233], v[94:95], v[190:191]
	v_mul_f64 v[190:191], v[90:91], v[160:161]
	;; [unrolled: 1-line block ×3, first 2 shown]
	v_fma_f64 v[100:101], v[52:53], v[100:101], -v[240:241]
	v_fma_f64 v[52:53], v[52:53], v[102:103], v[192:193]
	v_lshlrev_b64 v[196:197], 4, v[202:203]
	v_mad_u32_u24 v202, 0x97e, v247, v250
	s_waitcnt vmcnt(10) lgkmcnt(3)
	v_mul_f64 v[244:245], v[154:155], v[168:169]
	v_mul_f64 v[146:147], v[152:153], v[168:169]
	s_waitcnt vmcnt(9) lgkmcnt(2)
	v_mul_f64 v[168:169], v[158:159], v[172:173]
	v_mul_f64 v[150:151], v[156:157], v[172:173]
	v_add_co_u32 v172, vcc_lo, v200, v238
	v_add_co_ci_u32_e32 v173, vcc_lo, v201, v239, vcc_lo
	v_fma_f64 v[104:105], v[50:51], v[104:105], -v[198:199]
	v_fma_f64 v[50:51], v[50:51], v[106:107], v[162:163]
	v_add_co_u32 v230, vcc_lo, v200, v242
	v_fma_f64 v[84:85], v[44:45], v[84:85], -v[194:195]
	v_fma_f64 v[44:45], v[44:45], v[86:87], v[188:189]
	v_add_co_ci_u32_e32 v231, vcc_lo, v201, v243, vcc_lo
	v_add_co_u32 v240, vcc_lo, 0x3000, v214
	s_waitcnt vmcnt(8)
	v_mul_f64 v[236:237], v[110:111], v[186:187]
	s_waitcnt vmcnt(7)
	v_mul_f64 v[102:103], v[114:115], v[182:183]
	v_mul_f64 v[182:183], v[112:113], v[182:183]
	;; [unrolled: 1-line block ×3, first 2 shown]
	v_fma_f64 v[92:93], v[46:47], v[92:93], -v[232:233]
	v_fma_f64 v[46:47], v[46:47], v[94:95], v[98:99]
	v_fma_f64 v[88:89], v[48:49], v[88:89], -v[190:191]
	v_fma_f64 v[48:49], v[48:49], v[90:91], v[160:161]
	v_lshlrev_b64 v[242:243], 4, v[211:212]
	v_add_co_ci_u32_e32 v241, vcc_lo, 0, v215, vcc_lo
	s_waitcnt vmcnt(6)
	v_mul_f64 v[192:193], v[130:131], v[184:185]
	s_waitcnt vmcnt(5)
	v_mul_f64 v[238:239], v[134:135], v[180:181]
	v_mul_f64 v[180:181], v[132:133], v[180:181]
	;; [unrolled: 1-line block ×3, first 2 shown]
	v_add_nc_u32_e32 v212, 0x32a, v202
	v_fma_f64 v[152:153], v[20:21], v[152:153], -v[244:245]
	v_fma_f64 v[20:21], v[20:21], v[154:155], v[146:147]
	v_fma_f64 v[156:157], v[28:29], v[156:157], -v[168:169]
	v_fma_f64 v[28:29], v[28:29], v[158:159], v[150:151]
	s_waitcnt vmcnt(3)
	v_mul_f64 v[150:151], v[122:123], v[166:167]
	v_mul_f64 v[158:159], v[78:79], v[176:177]
	;; [unrolled: 1-line block ×6, first 2 shown]
	s_waitcnt vmcnt(2)
	v_mul_f64 v[106:107], v[116:117], v[164:165]
	s_waitcnt vmcnt(1)
	v_mul_f64 v[162:163], v[136:137], v[170:171]
	v_mul_f64 v[170:171], v[138:139], v[170:171]
	s_waitcnt vmcnt(0)
	v_mul_f64 v[176:177], v[140:141], v[174:175]
	v_mul_f64 v[174:175], v[142:143], v[174:175]
	v_mul_f64 v[164:165], v[118:119], v[164:165]
	v_add_co_u32 v178, vcc_lo, 0x6000, v214
	v_fma_f64 v[86:87], v[38:39], v[108:109], -v[236:237]
	v_fma_f64 v[90:91], v[42:43], v[112:113], -v[102:103]
	v_fma_f64 v[94:95], v[42:43], v[114:115], v[182:183]
	v_fma_f64 v[38:39], v[38:39], v[110:111], v[186:187]
	v_add_co_ci_u32_e32 v179, vcc_lo, 0, v215, vcc_lo
	v_add_co_u32 v198, vcc_lo, v200, v242
	v_add_f64 v[160:161], v[48:49], v[64:65]
	v_add_co_ci_u32_e32 v199, vcc_lo, v201, v243, vcc_lo
	v_fma_f64 v[42:43], v[36:37], v[128:129], -v[192:193]
	v_fma_f64 v[98:99], v[40:41], v[132:133], -v[238:239]
	v_fma_f64 v[102:103], v[40:41], v[134:135], v[180:181]
	v_fma_f64 v[36:37], v[36:37], v[130:131], v[184:185]
	v_add_f64 v[128:129], v[148:149], v[100:101]
	s_waitcnt lgkmcnt(0)
	v_add_f64 v[134:135], v[56:57], v[80:81]
	v_add_co_u32 v196, vcc_lo, v200, v196
	v_lshlrev_b64 v[242:243], 4, v[202:203]
	v_add_co_ci_u32_e32 v197, vcc_lo, v201, v197, vcc_lo
	v_add_f64 v[110:111], v[20:21], v[72:73]
	v_add_f64 v[132:133], v[20:21], v[28:29]
	v_fma_f64 v[108:109], v[34:35], v[120:121], -v[150:151]
	v_fma_f64 v[76:77], v[24:25], v[76:77], -v[158:159]
	v_fma_f64 v[78:79], v[24:25], v[78:79], v[168:169]
	v_fma_f64 v[40:41], v[26:27], v[124:125], -v[146:147]
	v_fma_f64 v[26:27], v[26:27], v[126:127], v[154:155]
	v_fma_f64 v[34:35], v[34:35], v[122:123], v[166:167]
	v_fma_f64 v[106:107], v[32:33], v[118:119], v[106:107]
	v_fma_f64 v[112:113], v[22:23], v[138:139], v[162:163]
	v_fma_f64 v[118:119], v[22:23], v[136:137], -v[170:171]
	v_fma_f64 v[114:115], v[30:31], v[142:143], v[176:177]
	v_fma_f64 v[120:121], v[30:31], v[140:141], -v[174:175]
	v_fma_f64 v[116:117], v[32:33], v[116:117], -v[164:165]
	v_add_f64 v[24:25], v[58:59], v[82:83]
	v_add_f64 v[122:123], v[58:59], v[54:55]
	;; [unrolled: 1-line block ×8, first 2 shown]
	v_add_f64 v[130:131], v[152:153], -v[156:157]
	v_add_f64 v[142:143], v[144:145], -v[96:97]
	;; [unrolled: 1-line block ×4, first 2 shown]
	v_add_f64 v[148:149], v[50:51], v[46:47]
	v_add_f64 v[150:151], v[50:51], v[66:67]
	;; [unrolled: 1-line block ×3, first 2 shown]
	v_add_f64 v[154:155], v[50:51], -v[46:47]
	v_add_f64 v[50:51], v[10:11], v[104:105]
	v_add_f64 v[104:105], v[88:89], -v[84:85]
	v_add_f64 v[158:159], v[48:49], v[44:45]
	v_add_f64 v[162:163], v[88:89], v[84:85]
	v_add_f64 v[164:165], v[48:49], -v[44:45]
	v_add_f64 v[48:49], v[8:9], v[88:89]
	v_add_f64 v[88:89], v[38:39], v[94:95]
	;; [unrolled: 1-line block ×3, first 2 shown]
	v_add_f64 v[184:185], v[38:39], -v[94:95]
	v_add_f64 v[166:167], v[86:87], v[90:91]
	v_add_f64 v[176:177], v[86:87], -v[90:91]
	v_add_f64 v[186:187], v[2:3], v[86:87]
	v_add_f64 v[86:87], v[36:37], v[102:103]
	;; [unrolled: 1-line block ×6, first 2 shown]
	v_add_f64 v[140:141], v[20:21], -v[28:29]
	v_add_f64 v[58:59], v[58:59], -v[54:55]
	v_add_f64 v[174:175], v[112:113], v[114:115]
	v_add_f64 v[180:181], v[118:119], v[120:121]
	;; [unrolled: 1-line block ×3, first 2 shown]
	v_add_f64 v[56:57], v[56:57], -v[52:53]
	v_add_f64 v[194:195], v[36:37], v[60:61]
	v_add_f64 v[232:233], v[36:37], -v[102:103]
	v_add_f64 v[36:37], v[26:27], v[70:71]
	;; [unrolled: 2-line block ×3, first 2 shown]
	v_fma_f64 v[28:29], v[132:133], -0.5, v[72:73]
	v_add_f64 v[26:27], v[54:55], v[24:25]
	v_fma_f64 v[54:55], v[122:123], -0.5, v[82:83]
	v_fma_f64 v[72:73], v[124:125], -0.5, v[80:81]
	;; [unrolled: 1-line block ×3, first 2 shown]
	v_add_f64 v[192:193], v[42:43], -v[98:99]
	v_add_f64 v[236:237], v[0:1], v[42:43]
	v_add_f64 v[42:43], v[6:7], v[40:41]
	v_add_f64 v[238:239], v[40:41], -v[108:109]
	v_fma_f64 v[40:41], v[138:139], -0.5, v[12:13]
	v_fma_f64 v[80:81], v[126:127], -0.5, v[18:19]
	v_add_f64 v[16:17], v[136:137], v[100:101]
	v_add_f64 v[100:101], v[112:113], v[74:75]
	;; [unrolled: 1-line block ×5, first 2 shown]
	v_add_f64 v[118:119], v[118:119], -v[120:121]
	v_add_f64 v[112:113], v[112:113], -v[114:115]
	v_add_f64 v[24:25], v[32:33], v[96:97]
	v_add_f64 v[96:97], v[4:5], v[76:77]
	v_add_f64 v[76:77], v[76:77], -v[116:117]
	v_add_f64 v[126:127], v[78:79], -v[106:107]
	v_add_f64 v[20:21], v[30:31], v[156:157]
	v_fma_f64 v[136:137], v[188:189], -0.5, v[6:7]
	v_fma_f64 v[134:135], v[152:153], -0.5, v[10:11]
	;; [unrolled: 1-line block ×10, first 2 shown]
	v_add_f64 v[12:13], v[46:47], v[150:151]
	v_add_f64 v[10:11], v[50:51], v[92:93]
	v_add_f64 v[4:5], v[48:49], v[84:85]
	v_fma_f64 v[148:149], v[88:89], -0.5, v[62:63]
	v_fma_f64 v[150:151], v[166:167], -0.5, v[2:3]
	v_add_f64 v[6:7], v[44:45], v[160:161]
	v_add_f64 v[2:3], v[34:35], v[36:37]
	v_fma_f64 v[30:31], v[130:131], s[4:5], v[28:29]
	v_fma_f64 v[50:51], v[144:145], s[10:11], v[72:73]
	;; [unrolled: 1-line block ×5, first 2 shown]
	v_add_f64 v[0:1], v[42:43], v[108:109]
	v_fma_f64 v[34:35], v[130:131], s[10:11], v[28:29]
	v_fma_f64 v[28:29], v[140:141], s[10:11], v[40:41]
	;; [unrolled: 1-line block ×7, first 2 shown]
	v_fma_f64 v[138:139], v[158:159], -0.5, v[64:65]
	v_fma_f64 v[8:9], v[162:163], -0.5, v[8:9]
	v_add_f64 v[58:59], v[114:115], v[100:101]
	v_add_f64 v[56:57], v[110:111], v[120:121]
	;; [unrolled: 1-line block ×6, first 2 shown]
	v_fma_f64 v[80:81], v[244:245], s[4:5], v[136:137]
	v_fma_f64 v[60:61], v[244:245], s[10:11], v[136:137]
	;; [unrolled: 1-line block ×12, first 2 shown]
	v_add_f64 v[88:89], v[236:237], v[98:99]
	v_fma_f64 v[118:119], v[192:193], s[4:5], v[152:153]
	v_fma_f64 v[116:117], v[232:233], s[10:11], v[156:157]
	;; [unrolled: 1-line block ×4, first 2 shown]
	v_add_nc_u32_e32 v202, 0x654, v202
	v_add_f64 v[86:87], v[94:95], v[182:183]
	s_clause 0x11
	global_store_b128 v[214:215], v[16:19], off
	global_store_b128 v[240:241], v[48:51], off offset:672
	global_store_b128 v[178:179], v[44:47], off offset:1344
	global_store_b128 v[205:206], v[24:27], off
	global_store_b128 v[216:217], v[40:43], off
	;; [unrolled: 1-line block ×15, first 2 shown]
	v_add_nc_u32_e32 v16, 0x288, v204
	v_fma_f64 v[114:115], v[176:177], s[10:11], v[148:149]
	v_fma_f64 v[112:113], v[184:185], s[4:5], v[150:151]
	v_lshlrev_b64 v[211:212], 4, v[212:213]
	v_sub_nc_u32_e32 v14, v246, v249
	v_fma_f64 v[110:111], v[176:177], s[4:5], v[148:149]
	v_fma_f64 v[108:109], v[184:185], s[10:11], v[150:151]
	v_add_co_u32 v0, vcc_lo, v200, v242
	v_lshlrev_b64 v[2:3], 4, v[202:203]
	v_mul_hi_u32 v17, 0x50e89cc3, v16
	v_add_co_ci_u32_e32 v1, vcc_lo, v201, v243, vcc_lo
	v_fma_f64 v[102:103], v[104:105], s[4:5], v[138:139]
	v_fma_f64 v[106:107], v[104:105], s[10:11], v[138:139]
	;; [unrolled: 1-line block ×4, first 2 shown]
	v_add_co_u32 v8, vcc_lo, v200, v211
	v_mad_u32_u24 v202, 0x97e, v248, v14
	v_add_co_ci_u32_e32 v9, vcc_lo, v201, v212, vcc_lo
	v_add_co_u32 v2, vcc_lo, v200, v2
	v_add_co_ci_u32_e32 v3, vcc_lo, v201, v3, vcc_lo
	s_delay_alu instid0(VALU_DEP_4)
	v_dual_mov_b32 v15, v203 :: v_dual_add_nc_u32 v14, 0x32a, v202
	v_lshrrev_b32_e32 v17, 8, v17
	v_add_nc_u32_e32 v18, 0x2d9, v204
	s_clause 0x2
	global_store_b128 v[0:1], v[88:91], off
	global_store_b128 v[8:9], v[120:123], off
	;; [unrolled: 1-line block ×3, first 2 shown]
	v_lshlrev_b64 v[2:3], 4, v[14:15]
	v_mul_u32_u24_e32 v14, 0x32a, v17
	v_mul_hi_u32 v15, 0x50e89cc3, v18
	v_lshlrev_b64 v[0:1], 4, v[202:203]
	v_add_nc_u32_e32 v202, 0x654, v202
	v_fma_f64 v[98:99], v[146:147], s[10:11], v[128:129]
	v_sub_nc_u32_e32 v14, v16, v14
	v_fma_f64 v[96:97], v[154:155], s[4:5], v[134:135]
	v_fma_f64 v[94:95], v[146:147], s[4:5], v[128:129]
	v_lshlrev_b64 v[8:9], 4, v[202:203]
	v_lshrrev_b32_e32 v16, 8, v15
	v_mad_u32_u24 v202, 0x97e, v17, v14
	v_add_co_u32 v0, vcc_lo, v200, v0
	v_fma_f64 v[92:93], v[154:155], s[10:11], v[134:135]
	v_add_co_ci_u32_e32 v1, vcc_lo, v201, v1, vcc_lo
	v_add_co_u32 v2, vcc_lo, v200, v2
	v_dual_mov_b32 v15, v203 :: v_dual_add_nc_u32 v14, 0x32a, v202
	v_mul_u32_u24_e32 v17, 0x32a, v16
	v_add_co_ci_u32_e32 v3, vcc_lo, v201, v3, vcc_lo
	v_add_co_u32 v8, vcc_lo, v200, v8
	v_add_co_ci_u32_e32 v9, vcc_lo, v201, v9, vcc_lo
	s_clause 0x1
	global_store_b128 v[0:1], v[84:87], off
	global_store_b128 v[2:3], v[112:115], off
	v_lshlrev_b64 v[0:1], 4, v[202:203]
	v_lshlrev_b64 v[2:3], 4, v[14:15]
	v_add_nc_u32_e32 v202, 0x654, v202
	v_sub_nc_u32_e32 v14, v18, v17
	global_store_b128 v[8:9], v[108:111], off
	v_mov_b32_e32 v17, v203
	v_add_co_u32 v0, vcc_lo, v200, v0
	v_lshlrev_b64 v[8:9], 4, v[202:203]
	v_mad_u32_u24 v202, 0x97e, v16, v14
	v_add_co_ci_u32_e32 v1, vcc_lo, v201, v1, vcc_lo
	v_add_co_u32 v2, vcc_lo, v200, v2
	s_delay_alu instid0(VALU_DEP_3)
	v_add_nc_u32_e32 v16, 0x32a, v202
	v_lshlrev_b64 v[14:15], 4, v[202:203]
	v_add_nc_u32_e32 v202, 0x654, v202
	v_add_co_ci_u32_e32 v3, vcc_lo, v201, v3, vcc_lo
	v_add_co_u32 v8, vcc_lo, v200, v8
	v_lshlrev_b64 v[16:17], 4, v[16:17]
	v_add_co_ci_u32_e32 v9, vcc_lo, v201, v9, vcc_lo
	v_add_co_u32 v14, vcc_lo, v200, v14
	v_lshlrev_b64 v[18:19], 4, v[202:203]
	v_add_co_ci_u32_e32 v15, vcc_lo, v201, v15, vcc_lo
	v_add_co_u32 v16, vcc_lo, v200, v16
	v_add_co_ci_u32_e32 v17, vcc_lo, v201, v17, vcc_lo
	s_delay_alu instid0(VALU_DEP_4)
	v_add_co_u32 v18, vcc_lo, v200, v18
	v_add_co_ci_u32_e32 v19, vcc_lo, v201, v19, vcc_lo
	s_clause 0x5
	global_store_b128 v[0:1], v[4:7], off
	global_store_b128 v[2:3], v[104:107], off
	;; [unrolled: 1-line block ×6, first 2 shown]
.LBB0_15:
	s_nop 0
	s_sendmsg sendmsg(MSG_DEALLOC_VGPRS)
	s_endpgm
	.section	.rodata,"a",@progbits
	.p2align	6, 0x0
	.amdhsa_kernel fft_rtc_fwd_len2430_factors_10_3_3_3_3_3_wgs_81_tpt_81_halfLds_dp_op_CI_CI_unitstride_sbrr_dirReg
		.amdhsa_group_segment_fixed_size 0
		.amdhsa_private_segment_fixed_size 0
		.amdhsa_kernarg_size 104
		.amdhsa_user_sgpr_count 15
		.amdhsa_user_sgpr_dispatch_ptr 0
		.amdhsa_user_sgpr_queue_ptr 0
		.amdhsa_user_sgpr_kernarg_segment_ptr 1
		.amdhsa_user_sgpr_dispatch_id 0
		.amdhsa_user_sgpr_private_segment_size 0
		.amdhsa_wavefront_size32 1
		.amdhsa_uses_dynamic_stack 0
		.amdhsa_enable_private_segment 0
		.amdhsa_system_sgpr_workgroup_id_x 1
		.amdhsa_system_sgpr_workgroup_id_y 0
		.amdhsa_system_sgpr_workgroup_id_z 0
		.amdhsa_system_sgpr_workgroup_info 0
		.amdhsa_system_vgpr_workitem_id 0
		.amdhsa_next_free_vgpr 251
		.amdhsa_next_free_sgpr 27
		.amdhsa_reserve_vcc 1
		.amdhsa_float_round_mode_32 0
		.amdhsa_float_round_mode_16_64 0
		.amdhsa_float_denorm_mode_32 3
		.amdhsa_float_denorm_mode_16_64 3
		.amdhsa_dx10_clamp 1
		.amdhsa_ieee_mode 1
		.amdhsa_fp16_overflow 0
		.amdhsa_workgroup_processor_mode 1
		.amdhsa_memory_ordered 1
		.amdhsa_forward_progress 0
		.amdhsa_shared_vgpr_count 0
		.amdhsa_exception_fp_ieee_invalid_op 0
		.amdhsa_exception_fp_denorm_src 0
		.amdhsa_exception_fp_ieee_div_zero 0
		.amdhsa_exception_fp_ieee_overflow 0
		.amdhsa_exception_fp_ieee_underflow 0
		.amdhsa_exception_fp_ieee_inexact 0
		.amdhsa_exception_int_div_zero 0
	.end_amdhsa_kernel
	.text
.Lfunc_end0:
	.size	fft_rtc_fwd_len2430_factors_10_3_3_3_3_3_wgs_81_tpt_81_halfLds_dp_op_CI_CI_unitstride_sbrr_dirReg, .Lfunc_end0-fft_rtc_fwd_len2430_factors_10_3_3_3_3_3_wgs_81_tpt_81_halfLds_dp_op_CI_CI_unitstride_sbrr_dirReg
                                        ; -- End function
	.section	.AMDGPU.csdata,"",@progbits
; Kernel info:
; codeLenInByte = 24212
; NumSgprs: 29
; NumVgprs: 251
; ScratchSize: 0
; MemoryBound: 1
; FloatMode: 240
; IeeeMode: 1
; LDSByteSize: 0 bytes/workgroup (compile time only)
; SGPRBlocks: 3
; VGPRBlocks: 31
; NumSGPRsForWavesPerEU: 29
; NumVGPRsForWavesPerEU: 251
; Occupancy: 5
; WaveLimiterHint : 1
; COMPUTE_PGM_RSRC2:SCRATCH_EN: 0
; COMPUTE_PGM_RSRC2:USER_SGPR: 15
; COMPUTE_PGM_RSRC2:TRAP_HANDLER: 0
; COMPUTE_PGM_RSRC2:TGID_X_EN: 1
; COMPUTE_PGM_RSRC2:TGID_Y_EN: 0
; COMPUTE_PGM_RSRC2:TGID_Z_EN: 0
; COMPUTE_PGM_RSRC2:TIDIG_COMP_CNT: 0
	.text
	.p2alignl 7, 3214868480
	.fill 96, 4, 3214868480
	.type	__hip_cuid_e90c60a1b211ec19,@object ; @__hip_cuid_e90c60a1b211ec19
	.section	.bss,"aw",@nobits
	.globl	__hip_cuid_e90c60a1b211ec19
__hip_cuid_e90c60a1b211ec19:
	.byte	0                               ; 0x0
	.size	__hip_cuid_e90c60a1b211ec19, 1

	.ident	"AMD clang version 19.0.0git (https://github.com/RadeonOpenCompute/llvm-project roc-6.4.0 25133 c7fe45cf4b819c5991fe208aaa96edf142730f1d)"
	.section	".note.GNU-stack","",@progbits
	.addrsig
	.addrsig_sym __hip_cuid_e90c60a1b211ec19
	.amdgpu_metadata
---
amdhsa.kernels:
  - .args:
      - .actual_access:  read_only
        .address_space:  global
        .offset:         0
        .size:           8
        .value_kind:     global_buffer
      - .offset:         8
        .size:           8
        .value_kind:     by_value
      - .actual_access:  read_only
        .address_space:  global
        .offset:         16
        .size:           8
        .value_kind:     global_buffer
      - .actual_access:  read_only
        .address_space:  global
        .offset:         24
        .size:           8
        .value_kind:     global_buffer
      - .actual_access:  read_only
        .address_space:  global
        .offset:         32
        .size:           8
        .value_kind:     global_buffer
      - .offset:         40
        .size:           8
        .value_kind:     by_value
      - .actual_access:  read_only
        .address_space:  global
        .offset:         48
        .size:           8
        .value_kind:     global_buffer
      - .actual_access:  read_only
        .address_space:  global
        .offset:         56
        .size:           8
        .value_kind:     global_buffer
      - .offset:         64
        .size:           4
        .value_kind:     by_value
      - .actual_access:  read_only
        .address_space:  global
        .offset:         72
        .size:           8
        .value_kind:     global_buffer
      - .actual_access:  read_only
        .address_space:  global
        .offset:         80
        .size:           8
        .value_kind:     global_buffer
      - .actual_access:  read_only
        .address_space:  global
        .offset:         88
        .size:           8
        .value_kind:     global_buffer
      - .actual_access:  write_only
        .address_space:  global
        .offset:         96
        .size:           8
        .value_kind:     global_buffer
    .group_segment_fixed_size: 0
    .kernarg_segment_align: 8
    .kernarg_segment_size: 104
    .language:       OpenCL C
    .language_version:
      - 2
      - 0
    .max_flat_workgroup_size: 81
    .name:           fft_rtc_fwd_len2430_factors_10_3_3_3_3_3_wgs_81_tpt_81_halfLds_dp_op_CI_CI_unitstride_sbrr_dirReg
    .private_segment_fixed_size: 0
    .sgpr_count:     29
    .sgpr_spill_count: 0
    .symbol:         fft_rtc_fwd_len2430_factors_10_3_3_3_3_3_wgs_81_tpt_81_halfLds_dp_op_CI_CI_unitstride_sbrr_dirReg.kd
    .uniform_work_group_size: 1
    .uses_dynamic_stack: false
    .vgpr_count:     251
    .vgpr_spill_count: 0
    .wavefront_size: 32
    .workgroup_processor_mode: 1
amdhsa.target:   amdgcn-amd-amdhsa--gfx1100
amdhsa.version:
  - 1
  - 2
...

	.end_amdgpu_metadata
